;; amdgpu-corpus repo=ROCm/rocFFT kind=compiled arch=gfx1030 opt=O3
	.text
	.amdgcn_target "amdgcn-amd-amdhsa--gfx1030"
	.amdhsa_code_object_version 6
	.protected	bluestein_single_fwd_len1400_dim1_half_op_CI_CI ; -- Begin function bluestein_single_fwd_len1400_dim1_half_op_CI_CI
	.globl	bluestein_single_fwd_len1400_dim1_half_op_CI_CI
	.p2align	8
	.type	bluestein_single_fwd_len1400_dim1_half_op_CI_CI,@function
bluestein_single_fwd_len1400_dim1_half_op_CI_CI: ; @bluestein_single_fwd_len1400_dim1_half_op_CI_CI
; %bb.0:
	s_load_dwordx4 s[12:15], s[4:5], 0x28
	v_mul_u32_u24_e32 v1, 0x493, v0
	v_mov_b32_e32 v45, 0
	s_mov_b32 s0, exec_lo
	v_lshrrev_b32_e32 v1, 16, v1
	v_add_nc_u32_e32 v44, s6, v1
	s_waitcnt lgkmcnt(0)
	v_cmpx_gt_u64_e64 s[12:13], v[44:45]
	s_cbranch_execz .LBB0_39
; %bb.1:
	s_clause 0x1
	s_load_dwordx4 s[0:3], s[4:5], 0x18
	s_load_dwordx2 s[12:13], s[4:5], 0x0
	v_mul_lo_u16 v1, v1, 56
	v_sub_nc_u16 v2, v0, v1
	v_and_b32_e32 v101, 0xffff, v2
	v_or_b32_e32 v85, 0x1c0, v101
	v_lshlrev_b32_e32 v79, 2, v101
	s_waitcnt lgkmcnt(0)
	s_load_dwordx4 s[8:11], s[0:1], 0x0
	s_clause 0x6
	global_load_dword v105, v79, s[12:13]
	global_load_dword v103, v79, s[12:13] offset:224
	global_load_dword v100, v79, s[12:13] offset:448
	;; [unrolled: 1-line block ×6, first 2 shown]
	v_add_co_u32 v11, s0, s12, v79
	v_add_co_ci_u32_e64 v12, null, s13, 0, s0
	v_add_nc_u32_e32 v31, 0xa00, v79
	v_add_co_u32 v42, vcc_lo, 0x800, v11
	v_add_co_ci_u32_e32 v43, vcc_lo, 0, v12, vcc_lo
	v_add_nc_u32_e32 v32, 0xe00, v79
	v_add_nc_u32_e32 v18, 0x1000, v79
	global_load_dword v104, v[42:43], off offset:752
	s_waitcnt lgkmcnt(0)
	v_mad_u64_u32 v[0:1], null, s10, v44, 0
	v_mad_u64_u32 v[5:6], null, s8, v85, 0
	;; [unrolled: 1-line block ×3, first 2 shown]
	s_mul_i32 s1, s9, 0x2bc
	s_mul_hi_u32 s7, s8, 0x2bc
	v_mad_u64_u32 v[7:8], null, s11, v44, v[1:2]
	v_mov_b32_e32 v1, v6
	s_mul_i32 s0, s8, 0x2bc
	v_mad_u64_u32 v[8:9], null, s9, v101, v[4:5]
	s_add_i32 s1, s7, s1
	v_mad_u64_u32 v[9:10], null, s9, v85, v[1:2]
	v_mov_b32_e32 v1, v7
	s_mul_hi_u32 s11, s8, 0xfffffd7c
	s_lshl_b64 s[16:17], s[0:1], 2
	v_mov_b32_e32 v4, v8
	s_mul_i32 s10, s9, 0xfffffd7c
	v_lshlrev_b64 v[0:1], 2, v[0:1]
	v_mov_b32_e32 v6, v9
	s_sub_i32 s11, s11, s8
	v_lshlrev_b64 v[3:4], 2, v[3:4]
	s_mul_i32 s6, s8, 0xfffffd7c
	s_add_i32 s7, s11, s10
	v_add_co_u32 v7, vcc_lo, s14, v0
	v_add_co_ci_u32_e32 v8, vcc_lo, s15, v1, vcc_lo
	v_lshlrev_b64 v[0:1], 2, v[5:6]
	v_add_co_u32 v3, vcc_lo, v7, v3
	v_add_co_ci_u32_e32 v4, vcc_lo, v8, v4, vcc_lo
	s_lshl_b64 s[0:1], s[6:7], 2
	v_add_co_u32 v0, vcc_lo, v7, v0
	v_add_co_ci_u32_e32 v1, vcc_lo, v8, v1, vcc_lo
	s_clause 0x1
	global_load_dword v13, v[3:4], off
	global_load_dword v14, v[0:1], off
	v_add_co_u32 v3, vcc_lo, v3, s16
	v_add_co_ci_u32_e32 v4, vcc_lo, s17, v4, vcc_lo
	v_add_co_u32 v0, vcc_lo, v3, s0
	v_add_co_ci_u32_e32 v1, vcc_lo, s1, v4, vcc_lo
	s_clause 0x1
	global_load_dword v15, v[3:4], off
	global_load_dword v16, v[0:1], off
	v_add_co_u32 v3, vcc_lo, v0, s16
	v_add_co_ci_u32_e32 v4, vcc_lo, s17, v1, vcc_lo
	v_add_co_u32 v0, vcc_lo, v3, s0
	v_add_co_ci_u32_e32 v1, vcc_lo, s1, v4, vcc_lo
	global_load_dword v17, v[3:4], off
	v_add_co_u32 v3, vcc_lo, v0, s16
	v_add_co_ci_u32_e32 v4, vcc_lo, s17, v1, vcc_lo
	s_clause 0x1
	global_load_dword v102, v[42:43], off offset:976
	global_load_dword v99, v[42:43], off offset:1200
	v_add_co_u32 v5, vcc_lo, v3, s0
	v_add_co_ci_u32_e32 v6, vcc_lo, s1, v4, vcc_lo
	global_load_dword v19, v[0:1], off
	v_add_co_u32 v0, vcc_lo, v5, s16
	v_add_co_ci_u32_e32 v1, vcc_lo, s17, v6, vcc_lo
	global_load_dword v20, v[3:4], off
	;; [unrolled: 3-line block ×4, first 2 shown]
	v_add_co_u32 v0, vcc_lo, v5, s0
	v_add_co_ci_u32_e32 v1, vcc_lo, s1, v6, vcc_lo
	s_clause 0x1
	global_load_dword v97, v[42:43], off offset:1424
	global_load_dword v95, v[42:43], off offset:1648
	v_add_co_u32 v7, vcc_lo, v0, s16
	v_add_co_ci_u32_e32 v8, vcc_lo, s17, v1, vcc_lo
	global_load_dword v23, v[3:4], off
	v_add_co_u32 v3, vcc_lo, v7, s0
	v_add_co_ci_u32_e32 v4, vcc_lo, s1, v8, vcc_lo
	global_load_dword v24, v[5:6], off
	;; [unrolled: 3-line block ×4, first 2 shown]
	v_add_co_u32 v7, vcc_lo, v0, s16
	v_add_co_ci_u32_e32 v8, vcc_lo, s17, v1, vcc_lo
	s_clause 0x1
	global_load_dword v93, v[42:43], off offset:1872
	global_load_dword v92, v79, s[12:13] offset:1344
	v_add_co_u32 v40, vcc_lo, 0x1000, v11
	v_mad_u64_u32 v[9:10], null, 0xe0, s8, v[7:8]
	global_load_dword v27, v[3:4], off
	v_add_co_ci_u32_e32 v41, vcc_lo, 0, v12, vcc_lo
	global_load_dword v6, v[5:6], off
	global_load_dword v91, v[40:41], off offset:48
	global_load_dword v11, v[0:1], off
	v_mov_b32_e32 v3, v10
	global_load_dword v90, v79, s[12:13] offset:1568
	global_load_dword v7, v[7:8], off
	global_load_dword v89, v[40:41], off offset:272
	v_add_nc_u32_e32 v5, 0x200, v79
	v_mad_u64_u32 v[0:1], null, 0xe0, s9, v[3:4]
	v_mov_b32_e32 v10, v0
	v_add_co_u32 v0, vcc_lo, v9, s0
	v_add_co_ci_u32_e32 v1, vcc_lo, s1, v10, vcc_lo
	global_load_dword v86, v79, s[12:13] offset:2016
	global_load_dword v8, v[9:10], off
	s_clause 0x1
	global_load_dword v87, v[40:41], off offset:496
	global_load_dword v84, v[40:41], off offset:720
	global_load_dword v9, v[0:1], off
	v_add_co_u32 v0, vcc_lo, v0, s16
	v_add_co_ci_u32_e32 v1, vcc_lo, s17, v1, vcc_lo
	global_load_dword v83, v[42:43], off offset:192
	v_add_co_u32 v3, vcc_lo, v0, s0
	v_add_co_ci_u32_e32 v4, vcc_lo, s1, v1, vcc_lo
	global_load_dword v10, v[0:1], off
	v_add_co_u32 v0, vcc_lo, v3, s16
	v_add_co_ci_u32_e32 v1, vcc_lo, s17, v4, vcc_lo
	global_load_dword v12, v[3:4], off
	;; [unrolled: 3-line block ×3, first 2 shown]
	v_add_co_u32 v0, vcc_lo, v3, s16
	v_add_co_ci_u32_e32 v1, vcc_lo, s17, v4, vcc_lo
	global_load_dword v82, v[40:41], off offset:944
	global_load_dword v29, v[3:4], off
	global_load_dword v30, v[0:1], off
	s_clause 0x1
	global_load_dword v81, v[42:43], off offset:416
	global_load_dword v80, v[40:41], off offset:1168
	s_load_dwordx2 s[6:7], s[4:5], 0x38
	s_load_dwordx4 s[8:11], s[2:3], 0x0
	v_add_nc_u32_e32 v4, 0xc00, v79
	v_add_nc_u32_e32 v3, 0x400, v79
	v_cmp_gt_u16_e32 vcc_lo, 28, v2
	s_waitcnt vmcnt(39)
	v_lshrrev_b32_e32 v33, 16, v13
	v_mul_f16_sdwa v34, v105, v13 dst_sel:DWORD dst_unused:UNUSED_PAD src0_sel:WORD_1 src1_sel:DWORD
	s_waitcnt vmcnt(38)
	v_lshrrev_b32_e32 v35, 16, v14
	v_mul_f16_sdwa v36, v88, v14 dst_sel:DWORD dst_unused:UNUSED_PAD src0_sel:WORD_1 src1_sel:DWORD
	v_mul_f16_sdwa v37, v105, v33 dst_sel:DWORD dst_unused:UNUSED_PAD src0_sel:WORD_1 src1_sel:DWORD
	v_fma_f16 v33, v105, v33, -v34
	v_mul_f16_sdwa v39, v88, v35 dst_sel:DWORD dst_unused:UNUSED_PAD src0_sel:WORD_1 src1_sel:DWORD
	v_fma_f16 v35, v88, v35, -v36
	v_fmac_f16_e32 v37, v105, v13
	s_waitcnt vmcnt(37)
	v_lshrrev_b32_e32 v34, 16, v15
	v_mul_f16_sdwa v38, v104, v15 dst_sel:DWORD dst_unused:UNUSED_PAD src0_sel:WORD_1 src1_sel:DWORD
	v_fmac_f16_e32 v39, v88, v14
	s_waitcnt vmcnt(36)
	v_lshrrev_b32_e32 v36, 16, v16
	v_pack_b32_f16 v14, v37, v33
	v_mul_f16_sdwa v13, v104, v34 dst_sel:DWORD dst_unused:UNUSED_PAD src0_sel:WORD_1 src1_sel:DWORD
	v_fma_f16 v34, v104, v34, -v38
	v_mul_f16_sdwa v38, v103, v16 dst_sel:DWORD dst_unused:UNUSED_PAD src0_sel:WORD_1 src1_sel:DWORD
	v_pack_b32_f16 v35, v39, v35
	v_fmac_f16_e32 v13, v104, v15
	v_mul_f16_sdwa v15, v103, v36 dst_sel:DWORD dst_unused:UNUSED_PAD src0_sel:WORD_1 src1_sel:DWORD
	v_fma_f16 v33, v103, v36, -v38
	s_waitcnt vmcnt(35)
	v_lshrrev_b32_e32 v36, 16, v17
	v_pack_b32_f16 v13, v13, v34
	v_fmac_f16_e32 v15, v103, v16
	s_waitcnt vmcnt(34)
	v_mul_f16_sdwa v37, v102, v17 dst_sel:DWORD dst_unused:UNUSED_PAD src0_sel:WORD_1 src1_sel:DWORD
	v_mul_f16_sdwa v16, v102, v36 dst_sel:DWORD dst_unused:UNUSED_PAD src0_sel:WORD_1 src1_sel:DWORD
	ds_write_b32 v79, v13 offset:2800
	v_pack_b32_f16 v13, v15, v33
	v_fma_f16 v34, v102, v36, -v37
	s_waitcnt vmcnt(32)
	v_lshrrev_b32_e32 v36, 16, v19
	v_mul_f16_sdwa v37, v100, v19 dst_sel:DWORD dst_unused:UNUSED_PAD src0_sel:WORD_1 src1_sel:DWORD
	v_fmac_f16_e32 v16, v102, v17
	ds_write2_b32 v79, v14, v13 offset1:56
	v_mul_f16_sdwa v15, v100, v36 dst_sel:DWORD dst_unused:UNUSED_PAD src0_sel:WORD_1 src1_sel:DWORD
	s_waitcnt vmcnt(31)
	v_lshrrev_b32_e32 v33, 16, v20
	v_fma_f16 v17, v100, v36, -v37
	v_mul_f16_sdwa v36, v99, v20 dst_sel:DWORD dst_unused:UNUSED_PAD src0_sel:WORD_1 src1_sel:DWORD
	v_pack_b32_f16 v13, v16, v34
	v_fmac_f16_e32 v15, v100, v19
	v_mul_f16_sdwa v14, v99, v33 dst_sel:DWORD dst_unused:UNUSED_PAD src0_sel:WORD_1 src1_sel:DWORD
	s_waitcnt vmcnt(30)
	v_lshrrev_b32_e32 v16, 16, v21
	v_fma_f16 v19, v99, v33, -v36
	v_mul_f16_sdwa v33, v98, v21 dst_sel:DWORD dst_unused:UNUSED_PAD src0_sel:WORD_1 src1_sel:DWORD
	v_pack_b32_f16 v15, v15, v17
	v_fmac_f16_e32 v14, v99, v20
	v_mul_f16_sdwa v17, v98, v16 dst_sel:DWORD dst_unused:UNUSED_PAD src0_sel:WORD_1 src1_sel:DWORD
	s_waitcnt vmcnt(29)
	v_lshrrev_b32_e32 v20, 16, v22
	s_waitcnt vmcnt(28)
	v_mul_f16_sdwa v34, v97, v22 dst_sel:DWORD dst_unused:UNUSED_PAD src0_sel:WORD_1 src1_sel:DWORD
	v_fma_f16 v16, v98, v16, -v33
	v_pack_b32_f16 v14, v14, v19
	v_fmac_f16_e32 v17, v98, v21
	v_mul_f16_sdwa v19, v97, v20 dst_sel:DWORD dst_unused:UNUSED_PAD src0_sel:WORD_1 src1_sel:DWORD
	v_fma_f16 v20, v97, v20, -v34
	s_waitcnt vmcnt(26)
	v_lshrrev_b32_e32 v21, 16, v23
	v_mul_f16_sdwa v33, v96, v23 dst_sel:DWORD dst_unused:UNUSED_PAD src0_sel:WORD_1 src1_sel:DWORD
	ds_write2_b32 v31, v13, v14 offset0:116 offset1:172
	v_pack_b32_f16 v13, v17, v16
	v_fmac_f16_e32 v19, v97, v22
	v_mul_f16_sdwa v14, v96, v21 dst_sel:DWORD dst_unused:UNUSED_PAD src0_sel:WORD_1 src1_sel:DWORD
	s_waitcnt vmcnt(25)
	v_lshrrev_b32_e32 v17, 16, v24
	v_fma_f16 v16, v96, v21, -v33
	v_mul_f16_sdwa v21, v95, v24 dst_sel:DWORD dst_unused:UNUSED_PAD src0_sel:WORD_1 src1_sel:DWORD
	ds_write2_b32 v79, v15, v13 offset0:112 offset1:168
	v_pack_b32_f16 v13, v19, v20
	v_fmac_f16_e32 v14, v96, v23
	v_mul_f16_sdwa v15, v95, v17 dst_sel:DWORD dst_unused:UNUSED_PAD src0_sel:WORD_1 src1_sel:DWORD
	s_waitcnt vmcnt(24)
	v_lshrrev_b32_e32 v19, 16, v25
	v_fma_f16 v17, v95, v17, -v21
	v_mul_f16_sdwa v20, v94, v25 dst_sel:DWORD dst_unused:UNUSED_PAD src0_sel:WORD_1 src1_sel:DWORD
	v_pack_b32_f16 v14, v14, v16
	v_fmac_f16_e32 v15, v95, v24
	v_mul_f16_sdwa v16, v94, v19 dst_sel:DWORD dst_unused:UNUSED_PAD src0_sel:WORD_1 src1_sel:DWORD
	s_waitcnt vmcnt(23)
	v_lshrrev_b32_e32 v21, 16, v26
	s_waitcnt vmcnt(22)
	v_mul_f16_sdwa v22, v93, v26 dst_sel:DWORD dst_unused:UNUSED_PAD src0_sel:WORD_1 src1_sel:DWORD
	v_fma_f16 v19, v94, v19, -v20
	v_pack_b32_f16 v15, v15, v17
	v_fmac_f16_e32 v16, v94, v25
	v_mul_f16_sdwa v17, v93, v21 dst_sel:DWORD dst_unused:UNUSED_PAD src0_sel:WORD_1 src1_sel:DWORD
	v_fma_f16 v20, v93, v21, -v22
	s_waitcnt vmcnt(20)
	v_lshrrev_b32_e32 v21, 16, v27
	v_mul_f16_sdwa v22, v92, v27 dst_sel:DWORD dst_unused:UNUSED_PAD src0_sel:WORD_1 src1_sel:DWORD
	ds_write2_b32 v4, v13, v15 offset0:100 offset1:156
	v_pack_b32_f16 v13, v16, v19
	v_fmac_f16_e32 v17, v93, v26
	v_mul_f16_sdwa v15, v92, v21 dst_sel:DWORD dst_unused:UNUSED_PAD src0_sel:WORD_1 src1_sel:DWORD
	v_fma_f16 v16, v92, v21, -v22
	s_waitcnt vmcnt(19)
	v_lshrrev_b32_e32 v19, 16, v6
	s_waitcnt vmcnt(18)
	v_mul_f16_sdwa v21, v91, v6 dst_sel:DWORD dst_unused:UNUSED_PAD src0_sel:WORD_1 src1_sel:DWORD
	ds_write2_b32 v5, v14, v13 offset0:96 offset1:152
	s_waitcnt vmcnt(17)
	v_lshrrev_b32_e32 v14, 16, v11
	v_pack_b32_f16 v13, v17, v20
	v_mul_f16_sdwa v17, v91, v19 dst_sel:DWORD dst_unused:UNUSED_PAD src0_sel:WORD_1 src1_sel:DWORD
	s_waitcnt vmcnt(16)
	v_mul_f16_sdwa v20, v90, v11 dst_sel:DWORD dst_unused:UNUSED_PAD src0_sel:WORD_1 src1_sel:DWORD
	v_fma_f16 v19, v91, v19, -v21
	v_mul_f16_sdwa v21, v90, v14 dst_sel:DWORD dst_unused:UNUSED_PAD src0_sel:WORD_1 src1_sel:DWORD
	v_fmac_f16_e32 v15, v92, v27
	v_fmac_f16_e32 v17, v91, v6
	v_fma_f16 v6, v90, v14, -v20
	s_waitcnt vmcnt(15)
	v_lshrrev_b32_e32 v14, 16, v7
	v_fmac_f16_e32 v21, v90, v11
	v_pack_b32_f16 v11, v15, v16
	v_pack_b32_f16 v15, v17, v19
	s_waitcnt vmcnt(12)
	v_lshrrev_b32_e32 v17, 16, v8
	v_mul_f16_sdwa v16, v89, v14 dst_sel:DWORD dst_unused:UNUSED_PAD src0_sel:WORD_1 src1_sel:DWORD
	v_pack_b32_f16 v6, v21, v6
	v_mul_f16_sdwa v20, v89, v7 dst_sel:DWORD dst_unused:UNUSED_PAD src0_sel:WORD_1 src1_sel:DWORD
	ds_write2_b32 v32, v13, v15 offset0:84 offset1:140
	v_add_nc_u32_e32 v19, 0x800, v79
	v_fmac_f16_e32 v16, v89, v7
	s_waitcnt vmcnt(11)
	v_mul_f16_sdwa v7, v87, v8 dst_sel:DWORD dst_unused:UNUSED_PAD src0_sel:WORD_1 src1_sel:DWORD
	ds_write2_b32 v3, v11, v6 offset0:80 offset1:136
	v_mul_f16_sdwa v6, v87, v17 dst_sel:DWORD dst_unused:UNUSED_PAD src0_sel:WORD_1 src1_sel:DWORD
	v_fma_f16 v14, v89, v14, -v20
	s_waitcnt vmcnt(9)
	v_lshrrev_b32_e32 v11, 16, v9
	v_fma_f16 v7, v87, v17, -v7
	s_waitcnt vmcnt(7)
	v_lshrrev_b32_e32 v15, 16, v10
	v_fmac_f16_e32 v6, v87, v8
	v_pack_b32_f16 v13, v16, v14
	v_mul_f16_sdwa v14, v86, v9 dst_sel:DWORD dst_unused:UNUSED_PAD src0_sel:WORD_1 src1_sel:DWORD
	v_mul_f16_sdwa v8, v86, v11 dst_sel:DWORD dst_unused:UNUSED_PAD src0_sel:WORD_1 src1_sel:DWORD
	;; [unrolled: 1-line block ×3, first 2 shown]
	v_pack_b32_f16 v6, v6, v7
	v_mul_f16_sdwa v7, v84, v15 dst_sel:DWORD dst_unused:UNUSED_PAD src0_sel:WORD_1 src1_sel:DWORD
	v_fma_f16 v11, v86, v11, -v14
	v_fmac_f16_e32 v8, v86, v9
	s_waitcnt vmcnt(6)
	v_lshrrev_b32_e32 v14, 16, v12
	v_fma_f16 v9, v84, v15, -v16
	v_fmac_f16_e32 v7, v84, v10
	ds_write2_b32 v18, v13, v6 offset0:68 offset1:124
	v_pack_b32_f16 v6, v8, v11
	v_mul_f16_sdwa v8, v83, v14 dst_sel:DWORD dst_unused:UNUSED_PAD src0_sel:WORD_1 src1_sel:DWORD
	v_mul_f16_sdwa v15, v83, v12 dst_sel:DWORD dst_unused:UNUSED_PAD src0_sel:WORD_1 src1_sel:DWORD
	s_waitcnt vmcnt(5)
	v_lshrrev_b32_e32 v11, 16, v28
	s_waitcnt vmcnt(4)
	v_mul_f16_sdwa v13, v82, v28 dst_sel:DWORD dst_unused:UNUSED_PAD src0_sel:WORD_1 src1_sel:DWORD
	v_pack_b32_f16 v7, v7, v9
	s_waitcnt vmcnt(3)
	v_lshrrev_b32_e32 v9, 16, v29
	v_fmac_f16_e32 v8, v83, v12
	s_waitcnt vmcnt(2)
	v_lshrrev_b32_e32 v12, 16, v30
	v_fma_f16 v10, v83, v14, -v15
	v_mul_f16_sdwa v14, v82, v11 dst_sel:DWORD dst_unused:UNUSED_PAD src0_sel:WORD_1 src1_sel:DWORD
	v_fma_f16 v11, v82, v11, -v13
	s_waitcnt vmcnt(1)
	v_mul_f16_sdwa v13, v81, v29 dst_sel:DWORD dst_unused:UNUSED_PAD src0_sel:WORD_1 src1_sel:DWORD
	v_mul_f16_sdwa v15, v81, v9 dst_sel:DWORD dst_unused:UNUSED_PAD src0_sel:WORD_1 src1_sel:DWORD
	s_waitcnt vmcnt(0)
	v_mul_f16_sdwa v16, v80, v12 dst_sel:DWORD dst_unused:UNUSED_PAD src0_sel:WORD_1 src1_sel:DWORD
	v_mul_f16_sdwa v17, v80, v30 dst_sel:DWORD dst_unused:UNUSED_PAD src0_sel:WORD_1 src1_sel:DWORD
	v_fmac_f16_e32 v14, v82, v28
	v_fma_f16 v9, v81, v9, -v13
	v_fmac_f16_e32 v15, v81, v29
	v_fmac_f16_e32 v16, v80, v30
	v_fma_f16 v12, v80, v12, -v17
	v_pack_b32_f16 v8, v8, v10
	v_pack_b32_f16 v10, v14, v11
	;; [unrolled: 1-line block ×4, first 2 shown]
	ds_write2_b32 v3, v35, v6 offset0:192 offset1:248
	ds_write2_b32 v18, v7, v10 offset0:180 offset1:236
	;; [unrolled: 1-line block ×3, first 2 shown]
	ds_write_b32 v79, v11 offset:5264
	s_and_saveexec_b32 s2, vcc_lo
	s_cbranch_execz .LBB0_3
; %bb.2:
	v_add_co_u32 v0, s0, v0, s0
	v_add_co_ci_u32_e64 v1, s0, s1, v1, s0
	v_add_co_u32 v6, s0, v0, s16
	v_add_co_ci_u32_e64 v7, s0, s17, v1, s0
	global_load_dword v0, v[0:1], off
	global_load_dword v1, v[6:7], off
	s_clause 0x1
	global_load_dword v2, v[42:43], off offset:640
	global_load_dword v6, v[40:41], off offset:1392
	s_waitcnt vmcnt(3)
	v_lshrrev_b32_e32 v7, 16, v0
	s_waitcnt vmcnt(2)
	v_lshrrev_b32_e32 v8, 16, v1
	s_waitcnt vmcnt(1)
	v_mul_f16_sdwa v9, v2, v0 dst_sel:DWORD dst_unused:UNUSED_PAD src0_sel:WORD_1 src1_sel:DWORD
	s_waitcnt vmcnt(0)
	v_mul_f16_sdwa v12, v6, v1 dst_sel:DWORD dst_unused:UNUSED_PAD src0_sel:WORD_1 src1_sel:DWORD
	v_mul_f16_sdwa v10, v2, v7 dst_sel:DWORD dst_unused:UNUSED_PAD src0_sel:WORD_1 src1_sel:DWORD
	;; [unrolled: 1-line block ×3, first 2 shown]
	v_fma_f16 v7, v2, v7, -v9
	v_fmac_f16_e32 v10, v2, v0
	v_fmac_f16_e32 v11, v6, v1
	v_fma_f16 v0, v6, v8, -v12
	v_pack_b32_f16 v1, v10, v7
	v_pack_b32_f16 v0, v11, v0
	ds_write_b32 v79, v1 offset:2688
	ds_write_b32 v79, v0 offset:5488
.LBB0_3:
	s_or_b32 exec_lo, exec_lo, s2
	s_waitcnt lgkmcnt(0)
	s_barrier
	buffer_gl0_inv
	ds_read2_b32 v[12:13], v79 offset1:56
	ds_read2_b32 v[0:1], v19 offset0:188 offset1:244
	ds_read2_b32 v[10:11], v79 offset0:112 offset1:168
	;; [unrolled: 1-line block ×6, first 2 shown]
	v_add_nc_u32_e32 v24, 0x1200, v79
	ds_read2_b32 v[20:21], v18 offset0:12 offset1:68
	ds_read2_b32 v[4:5], v3 offset0:192 offset1:248
	;; [unrolled: 1-line block ×5, first 2 shown]
                                        ; implicit-def: $vgpr24
                                        ; implicit-def: $vgpr25
	s_and_saveexec_b32 s0, vcc_lo
	s_cbranch_execz .LBB0_5
; %bb.4:
	ds_read_b32 v24, v79 offset:2688
	ds_read_b32 v25, v79 offset:5488
.LBB0_5:
	s_or_b32 exec_lo, exec_lo, s0
	v_add_co_u32 v62, s0, v101, 56
	s_waitcnt lgkmcnt(10)
	v_pk_add_f16 v28, v12, v0 neg_lo:[0,1] neg_hi:[0,1]
	v_add_co_ci_u32_e64 v26, null, 0, 0, s0
	v_add_co_u32 v61, s0, 0x70, v101
	v_add_co_ci_u32_e64 v26, null, 0, 0, s0
	s_load_dwordx2 s[2:3], s[4:5], 0x8
	v_lshlrev_b32_e32 v26, 1, v101
	v_pk_add_f16 v29, v13, v1 neg_lo:[0,1] neg_hi:[0,1]
	s_waitcnt lgkmcnt(0)
	v_pk_add_f16 v14, v10, v14 neg_lo:[0,1] neg_hi:[0,1]
	v_lshlrev_b32_e32 v112, 3, v101
	v_pk_fma_f16 v27, v12, 2.0, v28 op_sel_hi:[1,0,1] neg_lo:[0,0,1] neg_hi:[0,0,1]
	v_add_co_u32 v60, null, 0xa8, v101
	v_add_co_u32 v59, null, 0xe0, v101
	v_pk_add_f16 v31, v11, v15 neg_lo:[0,1] neg_hi:[0,1]
	v_pk_add_f16 v15, v8, v16 neg_lo:[0,1] neg_hi:[0,1]
	;; [unrolled: 1-line block ×4, first 2 shown]
	s_barrier
	buffer_gl0_inv
	ds_write_b64 v112, v[27:28]
	v_lshlrev_b32_e32 v114, 3, v62
	v_pk_fma_f16 v28, v13, 2.0, v29 op_sel_hi:[1,0,1] neg_lo:[0,0,1] neg_hi:[0,0,1]
	v_lshlrev_b32_e32 v111, 3, v61
	v_pk_fma_f16 v13, v10, 2.0, v14 op_sel_hi:[1,0,1] neg_lo:[0,0,1] neg_hi:[0,0,1]
	v_lshlrev_b32_e32 v10, 2, v26
	v_add_co_u32 v32, null, 0x2a0, v101
	v_pk_add_f16 v21, v7, v21 neg_lo:[0,1] neg_hi:[0,1]
	v_pk_add_f16 v1, v24, v25 neg_lo:[0,1] neg_hi:[0,1]
	;; [unrolled: 1-line block ×3, first 2 shown]
	v_lshlrev_b32_e32 v113, 3, v60
	v_pk_fma_f16 v30, v11, 2.0, v31 op_sel_hi:[1,0,1] neg_lo:[0,0,1] neg_hi:[0,0,1]
	ds_write_b64 v114, v[28:29]
	ds_write_b64 v111, v[13:14]
	v_lshlrev_b32_e32 v116, 3, v59
	v_pk_fma_f16 v14, v8, 2.0, v15 op_sel_hi:[1,0,1] neg_lo:[0,0,1] neg_hi:[0,0,1]
	v_pk_fma_f16 v16, v9, 2.0, v17 op_sel_hi:[1,0,1] neg_lo:[0,0,1] neg_hi:[0,0,1]
	;; [unrolled: 1-line block ×3, first 2 shown]
	v_add_nc_u32_e32 v6, 0x800, v10
	v_pk_add_f16 v34, v4, v22 neg_lo:[0,1] neg_hi:[0,1]
	v_pk_add_f16 v23, v5, v23 neg_lo:[0,1] neg_hi:[0,1]
	v_pk_add_f16 v18, v2, v18 neg_lo:[0,1] neg_hi:[0,1]
	v_pk_fma_f16 v0, v24, 2.0, v1 op_sel_hi:[1,0,1] neg_lo:[0,0,1] neg_hi:[0,0,1]
	v_lshlrev_b32_e32 v27, 1, v62
	v_lshlrev_b32_e32 v29, 1, v61
	;; [unrolled: 1-line block ×3, first 2 shown]
	ds_write_b64 v113, v[30:31]
	v_lshlrev_b32_e32 v31, 1, v59
	ds_write_b64 v116, v[14:15]
	v_add_nc_u32_e32 v131, 0x230, v26
	v_add_nc_u32_e32 v132, 0x2a0, v26
	ds_write2_b64 v6, v[16:17], v[19:20] offset0:24 offset1:80
	v_add_nc_u32_e32 v133, 0x310, v26
	v_pk_fma_f16 v20, v7, 2.0, v21 op_sel_hi:[1,0,1] neg_lo:[0,0,1] neg_hi:[0,0,1]
	v_lshlrev_b32_e32 v30, 1, v85
	v_lshlrev_b32_e32 v115, 3, v85
	v_add_nc_u32_e32 v134, 0x3f0, v26
	v_add_nc_u32_e32 v135, 0x460, v26
	;; [unrolled: 1-line block ×3, first 2 shown]
	v_lshlrev_b32_e32 v117, 3, v32
	v_pk_fma_f16 v33, v4, 2.0, v34 op_sel_hi:[1,0,1] neg_lo:[0,0,1] neg_hi:[0,0,1]
	v_pk_fma_f16 v22, v5, 2.0, v23 op_sel_hi:[1,0,1] neg_lo:[0,0,1] neg_hi:[0,0,1]
	;; [unrolled: 1-line block ×3, first 2 shown]
	v_add_nc_u32_e32 v2, 0xc00, v10
	v_pk_fma_f16 v24, v3, 2.0, v25 op_sel_hi:[1,0,1] neg_lo:[0,0,1] neg_hi:[0,0,1]
	ds_write_b64 v10, v[20:21] offset:3136
	ds_write_b64 v115, v[33:34]
	ds_write2_b64 v2, v[22:23], v[17:18] offset0:120 offset1:176
	ds_write_b64 v10, v[24:25] offset:4928
	s_and_saveexec_b32 s0, vcc_lo
	s_cbranch_execz .LBB0_7
; %bb.6:
	ds_write_b64 v117, v[0:1]
.LBB0_7:
	s_or_b32 exec_lo, exec_lo, s0
	v_add_nc_u32_e32 v10, 0x800, v79
	v_add_nc_u32_e32 v6, 0xc00, v79
	;; [unrolled: 1-line block ×6, first 2 shown]
	s_waitcnt lgkmcnt(0)
	s_barrier
	buffer_gl0_inv
	ds_read2_b32 v[2:3], v79 offset1:56
	ds_read2_b32 v[14:15], v10 offset0:188 offset1:244
	ds_read2_b32 v[4:5], v79 offset0:112 offset1:168
	;; [unrolled: 1-line block ×11, first 2 shown]
	s_and_saveexec_b32 s0, vcc_lo
	s_cbranch_execz .LBB0_9
; %bb.8:
	ds_read_b32 v0, v79 offset:2688
	ds_read_b32 v1, v79 offset:5488
.LBB0_9:
	s_or_b32 exec_lo, exec_lo, s0
	v_and_b32_e32 v107, 1, v101
	v_lshlrev_b32_e32 v106, 1, v32
	s_waitcnt lgkmcnt(10)
	v_lshrrev_b32_e32 v36, 16, v15
	s_waitcnt lgkmcnt(8)
	v_lshrrev_b32_e32 v38, 16, v16
	v_lshrrev_b32_e32 v45, 16, v17
	v_lshlrev_b32_e32 v33, 2, v107
	v_and_or_b32 v32, 0x7c, v26, v107
	v_and_or_b32 v68, 0xfc, v27, v107
	;; [unrolled: 1-line block ×4, first 2 shown]
	global_load_dword v108, v33, s[2:3]
	v_lshrrev_b32_e32 v33, 16, v14
	v_and_or_b32 v71, 0x3fc, v31, v107
	v_and_or_b32 v72, 0x2fc, v131, v107
	;; [unrolled: 1-line block ×4, first 2 shown]
	s_waitcnt lgkmcnt(6)
	v_lshrrev_b32_e32 v47, 16, v20
	v_and_or_b32 v75, 0x3fc, v30, v107
	v_and_or_b32 v76, 0x7fc, v134, v107
	v_lshrrev_b32_e32 v49, 16, v21
	s_waitcnt lgkmcnt(4)
	v_lshrrev_b32_e32 v51, 16, v24
	v_lshrrev_b32_e32 v53, 16, v25
	s_waitcnt lgkmcnt(2)
	v_lshrrev_b32_e32 v55, 16, v22
	;; [unrolled: 3-line block ×3, first 2 shown]
	v_lshrrev_b32_e32 v65, 16, v19
	v_lshrrev_b32_e32 v66, 16, v1
	v_and_or_b32 v77, 0x4fc, v135, v107
	v_and_or_b32 v78, 0x5fc, v136, v107
	v_lshlrev_b32_e32 v128, 2, v32
	v_lshlrev_b32_e32 v129, 2, v68
	;; [unrolled: 1-line block ×10, first 2 shown]
	v_lshrrev_b32_e32 v34, 16, v2
	v_lshlrev_b32_e32 v121, 2, v77
	v_lshlrev_b32_e32 v122, 2, v78
	v_lshrrev_b32_e32 v35, 16, v3
	v_lshrrev_b32_e32 v37, 16, v4
	;; [unrolled: 1-line block ×12, first 2 shown]
	s_waitcnt vmcnt(0)
	s_barrier
	buffer_gl0_inv
	v_mul_f16_sdwa v32, v33, v108 dst_sel:DWORD dst_unused:UNUSED_PAD src0_sel:DWORD src1_sel:WORD_1
	v_mul_f16_sdwa v68, v14, v108 dst_sel:DWORD dst_unused:UNUSED_PAD src0_sel:DWORD src1_sel:WORD_1
	v_mul_f16_sdwa v69, v36, v108 dst_sel:DWORD dst_unused:UNUSED_PAD src0_sel:DWORD src1_sel:WORD_1
	v_mul_f16_sdwa v70, v15, v108 dst_sel:DWORD dst_unused:UNUSED_PAD src0_sel:DWORD src1_sel:WORD_1
	v_mul_f16_sdwa v71, v38, v108 dst_sel:DWORD dst_unused:UNUSED_PAD src0_sel:DWORD src1_sel:WORD_1
	v_mul_f16_sdwa v72, v16, v108 dst_sel:DWORD dst_unused:UNUSED_PAD src0_sel:DWORD src1_sel:WORD_1
	v_mul_f16_sdwa v73, v45, v108 dst_sel:DWORD dst_unused:UNUSED_PAD src0_sel:DWORD src1_sel:WORD_1
	v_mul_f16_sdwa v74, v17, v108 dst_sel:DWORD dst_unused:UNUSED_PAD src0_sel:DWORD src1_sel:WORD_1
	v_mul_f16_sdwa v75, v47, v108 dst_sel:DWORD dst_unused:UNUSED_PAD src0_sel:DWORD src1_sel:WORD_1
	v_mul_f16_sdwa v76, v20, v108 dst_sel:DWORD dst_unused:UNUSED_PAD src0_sel:DWORD src1_sel:WORD_1
	v_mul_f16_sdwa v77, v49, v108 dst_sel:DWORD dst_unused:UNUSED_PAD src0_sel:DWORD src1_sel:WORD_1
	v_mul_f16_sdwa v78, v21, v108 dst_sel:DWORD dst_unused:UNUSED_PAD src0_sel:DWORD src1_sel:WORD_1
	v_mul_f16_sdwa v109, v51, v108 dst_sel:DWORD dst_unused:UNUSED_PAD src0_sel:DWORD src1_sel:WORD_1
	v_mul_f16_sdwa v110, v24, v108 dst_sel:DWORD dst_unused:UNUSED_PAD src0_sel:DWORD src1_sel:WORD_1
	v_mul_f16_sdwa v130, v53, v108 dst_sel:DWORD dst_unused:UNUSED_PAD src0_sel:DWORD src1_sel:WORD_1
	v_mul_f16_sdwa v137, v25, v108 dst_sel:DWORD dst_unused:UNUSED_PAD src0_sel:DWORD src1_sel:WORD_1
	v_mul_f16_sdwa v138, v55, v108 dst_sel:DWORD dst_unused:UNUSED_PAD src0_sel:DWORD src1_sel:WORD_1
	v_mul_f16_sdwa v139, v22, v108 dst_sel:DWORD dst_unused:UNUSED_PAD src0_sel:DWORD src1_sel:WORD_1
	v_mul_f16_sdwa v140, v57, v108 dst_sel:DWORD dst_unused:UNUSED_PAD src0_sel:DWORD src1_sel:WORD_1
	v_mul_f16_sdwa v141, v23, v108 dst_sel:DWORD dst_unused:UNUSED_PAD src0_sel:DWORD src1_sel:WORD_1
	v_mul_f16_sdwa v142, v63, v108 dst_sel:DWORD dst_unused:UNUSED_PAD src0_sel:DWORD src1_sel:WORD_1
	v_mul_f16_sdwa v143, v18, v108 dst_sel:DWORD dst_unused:UNUSED_PAD src0_sel:DWORD src1_sel:WORD_1
	v_mul_f16_sdwa v144, v65, v108 dst_sel:DWORD dst_unused:UNUSED_PAD src0_sel:DWORD src1_sel:WORD_1
	v_mul_f16_sdwa v145, v19, v108 dst_sel:DWORD dst_unused:UNUSED_PAD src0_sel:DWORD src1_sel:WORD_1
	v_mul_f16_sdwa v146, v66, v108 dst_sel:DWORD dst_unused:UNUSED_PAD src0_sel:DWORD src1_sel:WORD_1
	v_mul_f16_sdwa v147, v1, v108 dst_sel:DWORD dst_unused:UNUSED_PAD src0_sel:DWORD src1_sel:WORD_1
	v_fma_f16 v14, v14, v108, -v32
	v_fmac_f16_e32 v68, v33, v108
	v_fma_f16 v15, v15, v108, -v69
	v_fmac_f16_e32 v70, v36, v108
	;; [unrolled: 2-line block ×5, first 2 shown]
	v_fma_f16 v21, v21, v108, -v77
	v_fma_f16 v24, v24, v108, -v109
	;; [unrolled: 1-line block ×3, first 2 shown]
	v_fmac_f16_e32 v78, v49, v108
	v_fmac_f16_e32 v110, v51, v108
	;; [unrolled: 1-line block ×3, first 2 shown]
	v_fma_f16 v22, v22, v108, -v138
	v_fmac_f16_e32 v139, v55, v108
	v_fma_f16 v23, v23, v108, -v140
	v_fmac_f16_e32 v141, v57, v108
	;; [unrolled: 2-line block ×5, first 2 shown]
	v_sub_f16_e32 v14, v2, v14
	v_sub_f16_e32 v36, v34, v68
	;; [unrolled: 1-line block ×26, first 2 shown]
	v_fma_f16 v1, v2, 2.0, -v14
	v_fma_f16 v2, v34, 2.0, -v36
	;; [unrolled: 1-line block ×26, first 2 shown]
	v_pack_b32_f16 v0, v14, v36
	v_pack_b32_f16 v1, v1, v2
	;; [unrolled: 1-line block ×24, first 2 shown]
	ds_write2_b32 v128, v1, v0 offset1:2
	ds_write2_b32 v129, v2, v14 offset1:2
	;; [unrolled: 1-line block ×12, first 2 shown]
	s_and_saveexec_b32 s0, vcc_lo
	s_cbranch_execz .LBB0_11
; %bb.10:
	v_and_or_b32 v0, 0x57c, v106, v107
	v_perm_b32 v1, v25, v24, 0x5040100
	v_perm_b32 v2, v33, v32, 0x5040100
	v_lshlrev_b32_e32 v0, 2, v0
	ds_write2_b32 v0, v1, v2 offset1:2
.LBB0_11:
	s_or_b32 exec_lo, exec_lo, s0
	v_add_nc_u32_e32 v8, 0x800, v79
	v_add_nc_u32_e32 v4, 0xc00, v79
	;; [unrolled: 1-line block ×6, first 2 shown]
	s_waitcnt lgkmcnt(0)
	s_barrier
	buffer_gl0_inv
	ds_read2_b32 v[0:1], v79 offset1:56
	ds_read2_b32 v[12:13], v8 offset0:188 offset1:244
	ds_read2_b32 v[2:3], v79 offset0:112 offset1:168
	;; [unrolled: 1-line block ×11, first 2 shown]
	s_and_saveexec_b32 s0, vcc_lo
	s_cbranch_execz .LBB0_13
; %bb.12:
	ds_read_b32 v24, v79 offset:2688
	ds_read_b32 v32, v79 offset:5488
	s_waitcnt lgkmcnt(1)
	v_lshrrev_b32_e32 v25, 16, v24
	s_waitcnt lgkmcnt(0)
	v_lshrrev_b32_e32 v33, 16, v32
.LBB0_13:
	s_or_b32 exec_lo, exec_lo, s0
	v_and_b32_e32 v110, 3, v101
	s_waitcnt lgkmcnt(10)
	v_lshrrev_b32_e32 v35, 16, v12
	v_lshrrev_b32_e32 v37, 16, v13
	s_waitcnt lgkmcnt(8)
	v_lshrrev_b32_e32 v39, 16, v14
	v_lshrrev_b32_e32 v46, 16, v15
	v_lshlrev_b32_e32 v34, 2, v110
	v_and_or_b32 v26, 0x78, v26, v110
	v_and_or_b32 v27, 0xf8, v27, v110
	;; [unrolled: 1-line block ×4, first 2 shown]
	global_load_dword v130, v34, s[2:3] offset:8
	v_and_or_b32 v31, 0x3f8, v31, v110
	v_and_or_b32 v30, 0x3f8, v30, v110
	;; [unrolled: 1-line block ×4, first 2 shown]
	s_waitcnt lgkmcnt(6)
	v_lshrrev_b32_e32 v48, 16, v16
	v_and_or_b32 v69, 0x3f8, v133, v110
	v_and_or_b32 v70, 0x7f8, v134, v110
	v_lshrrev_b32_e32 v50, 16, v17
	s_waitcnt lgkmcnt(4)
	v_lshrrev_b32_e32 v52, 16, v22
	v_lshrrev_b32_e32 v54, 16, v23
	s_waitcnt lgkmcnt(2)
	v_lshrrev_b32_e32 v56, 16, v20
	;; [unrolled: 3-line block ×3, first 2 shown]
	v_lshrrev_b32_e32 v66, 16, v19
	v_and_or_b32 v71, 0x4f8, v135, v110
	v_and_or_b32 v72, 0x5f8, v136, v110
	v_lshlrev_b32_e32 v147, 2, v26
	v_lshlrev_b32_e32 v148, 2, v27
	;; [unrolled: 1-line block ×10, first 2 shown]
	v_lshrrev_b32_e32 v34, 16, v0
	v_lshlrev_b32_e32 v140, 2, v71
	v_lshlrev_b32_e32 v141, 2, v72
	v_lshrrev_b32_e32 v36, 16, v1
	v_lshrrev_b32_e32 v38, 16, v2
	;; [unrolled: 1-line block ×11, first 2 shown]
	s_waitcnt vmcnt(0)
	s_barrier
	buffer_gl0_inv
	v_mul_f16_sdwa v26, v35, v130 dst_sel:DWORD dst_unused:UNUSED_PAD src0_sel:DWORD src1_sel:WORD_1
	v_mul_f16_sdwa v27, v12, v130 dst_sel:DWORD dst_unused:UNUSED_PAD src0_sel:DWORD src1_sel:WORD_1
	;; [unrolled: 1-line block ×25, first 2 shown]
	v_fma_f16 v12, v12, v130, -v26
	v_fmac_f16_e32 v27, v35, v130
	v_fma_f16 v13, v13, v130, -v28
	v_fmac_f16_e32 v29, v37, v130
	;; [unrolled: 2-line block ×5, first 2 shown]
	v_mul_f16_sdwa v155, v32, v130 dst_sel:DWORD dst_unused:UNUSED_PAD src0_sel:DWORD src1_sel:WORD_1
	v_fma_f16 v17, v17, v130, -v71
	v_fmac_f16_e32 v72, v50, v130
	v_fma_f16 v22, v22, v130, -v73
	v_fmac_f16_e32 v74, v52, v130
	v_fma_f16 v23, v23, v130, -v75
	v_fmac_f16_e32 v76, v54, v130
	v_fma_f16 v20, v20, v130, -v77
	v_fmac_f16_e32 v78, v56, v130
	v_fma_f16 v21, v21, v130, -v109
	v_fmac_f16_e32 v149, v58, v130
	v_fma_f16 v18, v18, v130, -v150
	v_fmac_f16_e32 v151, v63, v130
	v_fma_f16 v19, v19, v130, -v152
	v_fmac_f16_e32 v153, v66, v130
	v_fma_f16 v26, v32, v130, -v154
	v_sub_f16_e32 v12, v0, v12
	v_sub_f16_e32 v27, v34, v27
	;; [unrolled: 1-line block ×10, first 2 shown]
	v_fmac_f16_e32 v155, v33, v130
	v_sub_f16_e32 v17, v7, v17
	v_sub_f16_e32 v32, v49, v72
	v_sub_f16_e32 v22, v4, v22
	v_sub_f16_e32 v33, v51, v74
	v_sub_f16_e32 v23, v5, v23
	v_sub_f16_e32 v35, v53, v76
	v_sub_f16_e32 v37, v10, v20
	v_sub_f16_e32 v39, v55, v78
	v_sub_f16_e32 v21, v11, v21
	v_sub_f16_e32 v46, v57, v149
	v_sub_f16_e32 v18, v8, v18
	v_sub_f16_e32 v48, v64, v151
	v_sub_f16_e32 v19, v9, v19
	v_sub_f16_e32 v50, v65, v153
	v_sub_f16_e32 v20, v24, v26
	v_fma_f16 v0, v0, 2.0, -v12
	v_fma_f16 v26, v34, 2.0, -v27
	;; [unrolled: 1-line block ×10, first 2 shown]
	v_sub_f16_e32 v63, v25, v155
	v_fma_f16 v7, v7, 2.0, -v17
	v_fma_f16 v47, v49, 2.0, -v32
	;; [unrolled: 1-line block ×14, first 2 shown]
	v_pack_b32_f16 v12, v12, v27
	v_pack_b32_f16 v0, v0, v26
	;; [unrolled: 1-line block ×24, first 2 shown]
	ds_write2_b32 v147, v0, v12 offset1:4
	ds_write2_b32 v148, v1, v13 offset1:4
	;; [unrolled: 1-line block ×12, first 2 shown]
	s_and_saveexec_b32 s0, vcc_lo
	s_cbranch_execz .LBB0_15
; %bb.14:
	v_fma_f16 v0, v24, 2.0, -v20
	v_and_or_b32 v1, 0x578, v106, v110
	v_fma_f16 v2, v25, 2.0, -v63
	v_lshlrev_b32_e32 v1, 2, v1
	v_pack_b32_f16 v0, v0, v2
	v_perm_b32 v2, v63, v20, 0x5040100
	ds_write2_b32 v1, v0, v2 offset1:4
.LBB0_15:
	s_or_b32 exec_lo, exec_lo, s0
	v_and_b32_e32 v13, 7, v101
	s_waitcnt lgkmcnt(0)
	s_barrier
	buffer_gl0_inv
	v_add_nc_u32_e32 v8, 0x200, v79
	v_lshlrev_b32_e32 v0, 4, v13
	v_add_nc_u32_e32 v10, 0x800, v79
	v_add_nc_u32_e32 v12, 0xc00, v79
	;; [unrolled: 1-line block ×3, first 2 shown]
	ds_read2_b32 v[2:3], v79 offset1:56
	global_load_dwordx4 v[4:7], v0, s[2:3] offset:24
	ds_read2_b32 v[0:1], v79 offset0:112 offset1:168
	v_add_nc_u32_e32 v11, 0x400, v79
	ds_read_b32 v24, v79 offset:5376
	ds_read2_b32 v[22:23], v8 offset0:96 offset1:152
	ds_read2_b32 v[27:28], v10 offset0:48 offset1:104
	;; [unrolled: 1-line block ×5, first 2 shown]
	v_add_nc_u32_e32 v14, 0x1200, v79
	v_add_nc_u32_e32 v15, 0xe00, v79
	ds_read2_b32 v[36:37], v12 offset0:128 offset1:184
	ds_read2_b32 v[38:39], v10 offset0:160 offset1:216
	;; [unrolled: 1-line block ×5, first 2 shown]
	s_waitcnt vmcnt(0) lgkmcnt(0)
	s_barrier
	buffer_gl0_inv
	v_cmp_gt_u16_e64 s0, 32, v101
	v_lshrrev_b32_e32 v51, 16, v24
	v_lshrrev_b32_e32 v52, 16, v23
	;; [unrolled: 1-line block ×25, first 2 shown]
	v_mul_f16_sdwa v77, v52, v4 dst_sel:DWORD dst_unused:UNUSED_PAD src0_sel:DWORD src1_sel:WORD_1
	v_mul_f16_sdwa v78, v23, v4 dst_sel:DWORD dst_unused:UNUSED_PAD src0_sel:DWORD src1_sel:WORD_1
	;; [unrolled: 1-line block ×21, first 2 shown]
	v_fma_f16 v23, v23, v4, -v77
	v_fmac_f16_e32 v78, v52, v4
	v_fma_f16 v52, v27, v5, -v109
	v_fmac_f16_e32 v149, v53, v5
	v_fma_f16 v33, v33, v6, -v150
	v_fma_f16 v53, v29, v7, -v152
	v_mul_f16_sdwa v153, v56, v4 dst_sel:DWORD dst_unused:UNUSED_PAD src0_sel:DWORD src1_sel:WORD_1
	v_mul_f16_sdwa v157, v58, v6 dst_sel:DWORD dst_unused:UNUSED_PAD src0_sel:DWORD src1_sel:WORD_1
	;; [unrolled: 1-line block ×17, first 2 shown]
	v_fmac_f16_e32 v151, v54, v6
	v_fmac_f16_e32 v25, v55, v7
	;; [unrolled: 1-line block ×3, first 2 shown]
	v_fma_f16 v54, v28, v5, -v155
	v_fmac_f16_e32 v156, v57, v5
	v_fmac_f16_e32 v158, v58, v6
	v_fmac_f16_e32 v31, v65, v7
	v_fmac_f16_e32 v161, v66, v4
	v_fmac_f16_e32 v169, v70, v4
	v_fmac_f16_e32 v171, v71, v5
	v_fmac_f16_e32 v173, v72, v6
	v_fmac_f16_e32 v175, v73, v7
	v_fma_f16 v27, v32, v5, -v177
	v_fma_f16 v28, v50, v6, -v178
	v_fmac_f16_e32 v26, v51, v7
	v_add_f16_e32 v32, v52, v33
	v_sub_f16_e32 v51, v23, v52
	v_sub_f16_e32 v56, v53, v33
	v_add_f16_e32 v57, v23, v53
	v_add_f16_e32 v66, v17, v78
	v_mul_f16_sdwa v176, v74, v4 dst_sel:DWORD dst_unused:UNUSED_PAD src0_sel:DWORD src1_sel:WORD_1
	v_fma_f16 v34, v34, v4, -v153
	v_fma_f16 v36, v36, v6, -v157
	;; [unrolled: 1-line block ×4, first 2 shown]
	v_fmac_f16_e32 v163, v67, v5
	v_fmac_f16_e32 v165, v68, v6
	;; [unrolled: 1-line block ×3, first 2 shown]
	v_fma_f16 v47, v47, v4, -v168
	v_mul_f16_sdwa v174, v73, v7 dst_sel:DWORD dst_unused:UNUSED_PAD src0_sel:DWORD src1_sel:WORD_1
	v_fma_f16 v38, v38, v5, -v162
	v_fma_f16 v37, v37, v6, -v164
	;; [unrolled: 1-line block ×5, first 2 shown]
	v_fmac_f16_e32 v18, v74, v4
	v_fmac_f16_e32 v21, v76, v6
	v_fma_f16 v30, v24, v7, -v179
	v_add_f16_e32 v24, v2, v23
	v_sub_f16_e32 v50, v149, v151
	v_sub_f16_e32 v58, v52, v23
	;; [unrolled: 1-line block ×9, first 2 shown]
	v_add_f16_e32 v155, v16, v154
	v_sub_f16_e32 v160, v154, v156
	v_sub_f16_e32 v162, v31, v158
	v_add_f16_e32 v164, v154, v31
	v_sub_f16_e32 v154, v156, v154
	v_sub_f16_e32 v166, v158, v31
	v_add_f16_e32 v198, v171, v173
	v_add_f16_e32 v202, v169, v175
	v_add_f16_e32 v205, v27, v28
	v_fma_f16 v32, -0.5, v32, v2
	v_add_f16_e32 v51, v51, v56
	v_fma_f16 v2, -0.5, v57, v2
	v_add_f16_e32 v56, v66, v149
	v_fma_f16 v29, v48, v4, -v176
	v_add_f16_e32 v74, v3, v34
	v_sub_f16_e32 v152, v54, v34
	v_sub_f16_e32 v153, v36, v55
	v_add_f16_e32 v157, v156, v158
	v_add_f16_e32 v168, v0, v35
	;; [unrolled: 1-line block ×5, first 2 shown]
	v_fma_f16 v46, v46, v7, -v174
	v_fmac_f16_e32 v19, v75, v5
	v_sub_f16_e32 v48, v78, v25
	v_add_f16_e32 v67, v149, v151
	v_sub_f16_e32 v69, v52, v33
	v_add_f16_e32 v71, v78, v25
	v_add_f16_e32 v75, v54, v36
	;; [unrolled: 1-line block ×5, first 2 shown]
	v_sub_f16_e32 v199, v39, v49
	v_sub_f16_e32 v206, v18, v26
	v_add_f16_e32 v24, v24, v52
	v_add_f16_e32 v52, v58, v65
	;; [unrolled: 1-line block ×6, first 2 shown]
	v_fma_f16 v160, -0.5, v198, v14
	v_fmac_f16_e32 v14, -0.5, v202
	v_fma_f16 v23, -0.5, v205, v22
	v_fmamk_f16 v166, v50, 0xbb9c, v2
	v_fmac_f16_e32 v2, 0x3b9c, v50
	v_add_f16_e32 v56, v56, v151
	v_sub_f16_e32 v78, v34, v54
	v_sub_f16_e32 v109, v55, v36
	;; [unrolled: 1-line block ×6, first 2 shown]
	v_add_f16_e32 v181, v15, v161
	v_sub_f16_e32 v183, v38, v37
	v_add_f16_e32 v189, v39, v49
	v_sub_f16_e32 v192, v47, v39
	v_sub_f16_e32 v195, v39, v47
	v_add_f16_e32 v204, v22, v29
	v_add_f16_e32 v54, v74, v54
	;; [unrolled: 1-line block ×3, first 2 shown]
	v_fma_f16 v74, -0.5, v157, v16
	v_fmac_f16_e32 v16, -0.5, v164
	v_add_f16_e32 v38, v168, v38
	v_fma_f16 v152, -0.5, v182, v15
	v_fmac_f16_e32 v15, -0.5, v186
	v_add_f16_e32 v39, v188, v39
	v_add_f16_e32 v150, v34, v55
	v_sub_f16_e32 v34, v34, v55
	v_add_f16_e32 v194, v47, v46
	v_sub_f16_e32 v47, v47, v46
	v_sub_f16_e32 v207, v19, v21
	;; [unrolled: 1-line block ×3, first 2 shown]
	v_fma_f16 v57, -0.5, v67, v17
	v_fmac_f16_e32 v17, -0.5, v71
	v_fma_f16 v66, -0.5, v75, v3
	v_add_f16_e32 v71, v155, v156
	v_fma_f16 v75, -0.5, v170, v0
	v_fma_f16 v0, -0.5, v178, v0
	v_add_f16_e32 v157, v197, v171
	v_add_f16_e32 v33, v24, v33
	v_fmamk_f16 v164, v48, 0x3b9c, v32
	v_fmac_f16_e32 v32, 0xbb9c, v48
	v_fmamk_f16 v178, v199, 0x3b9c, v14
	v_fmac_f16_e32 v14, 0xbb9c, v199
	;; [unrolled: 2-line block ×3, first 2 shown]
	v_fmac_f16_e32 v2, 0xb8b4, v48
	v_add_f16_e32 v48, v56, v25
	v_sub_f16_e32 v25, v30, v28
	v_fmac_f16_e32 v23, 0xbb9c, v206
	v_sub_f16_e32 v172, v161, v167
	v_sub_f16_e32 v174, v163, v165
	;; [unrolled: 1-line block ×6, first 2 shown]
	v_add_f16_e32 v67, v78, v109
	v_add_f16_e32 v78, v176, v177
	;; [unrolled: 1-line block ×4, first 2 shown]
	v_fmamk_f16 v170, v159, 0x3b9c, v16
	v_fmac_f16_e32 v16, 0xbb9c, v159
	v_add_f16_e32 v37, v38, v37
	v_fmamk_f16 v176, v183, 0x3b9c, v15
	v_fmac_f16_e32 v15, 0xbb9c, v183
	v_add_f16_e32 v39, v39, v49
	v_sub_f16_e32 v77, v156, v158
	v_sub_f16_e32 v191, v171, v173
	;; [unrolled: 1-line block ×4, first 2 shown]
	v_add_f16_e32 v71, v71, v158
	v_fmamk_f16 v158, v34, 0xbb9c, v74
	v_fmac_f16_e32 v74, 0x3b9c, v34
	v_add_f16_e32 v157, v157, v173
	v_fmamk_f16 v173, v47, 0xbb9c, v160
	v_fmac_f16_e32 v160, 0x3b9c, v47
	v_fmac_f16_e32 v178, 0xb8b4, v47
	;; [unrolled: 1-line block ×4, first 2 shown]
	v_add_f16_e32 v47, v208, v25
	v_fmac_f16_e32 v23, 0xb8b4, v207
	v_sub_f16_e32 v185, v167, v165
	v_sub_f16_e32 v187, v165, v167
	;; [unrolled: 1-line block ×4, first 2 shown]
	v_add_f16_e32 v149, v149, v165
	v_fmamk_f16 v165, v35, 0xbb9c, v152
	v_fmac_f16_e32 v152, 0x3b9c, v35
	v_fmac_f16_e32 v164, 0x38b4, v50
	;; [unrolled: 1-line block ×5, first 2 shown]
	v_add_f16_e32 v34, v37, v45
	v_fmac_f16_e32 v176, 0xb8b4, v35
	v_fmac_f16_e32 v15, 0x38b4, v35
	v_add_f16_e32 v35, v39, v46
	v_add_f16_e32 v45, v29, v30
	v_add_f16_e32 v46, v163, v28
	v_fmac_f16_e32 v158, 0xb8b4, v159
	v_fmac_f16_e32 v74, 0x38b4, v159
	;; [unrolled: 1-line block ×5, first 2 shown]
	v_add_f16_e32 v52, v19, v21
	v_fmac_f16_e32 v23, 0x34f2, v47
	v_add_f16_e32 v47, v18, v26
	v_fmac_f16_e32 v164, 0x34f2, v51
	v_fmac_f16_e32 v32, 0x34f2, v51
	v_fmac_f16_e32 v22, -0.5, v45
	v_add_f16_e32 v45, v46, v30
	v_sub_f16_e32 v46, v27, v29
	v_sub_f16_e32 v50, v28, v30
	v_add_f16_e32 v51, v64, v18
	v_fmac_f16_e32 v158, 0x34f2, v72
	v_fmac_f16_e32 v74, 0x34f2, v72
	v_fma_f16 v72, -0.5, v52, v64
	v_sub_f16_e32 v27, v27, v28
	v_fmac_f16_e32 v64, -0.5, v47
	v_add_f16_e32 v46, v46, v50
	v_add_f16_e32 v50, v51, v19
	v_fmac_f16_e32 v170, 0x34f2, v73
	v_fmac_f16_e32 v16, 0x34f2, v73
	v_sub_f16_e32 v29, v29, v30
	v_sub_f16_e32 v28, v18, v19
	v_fmamk_f16 v73, v27, 0x3b9c, v64
	v_sub_f16_e32 v18, v19, v18
	v_sub_f16_e32 v19, v21, v26
	v_fmac_f16_e32 v64, 0xbb9c, v27
	v_fmamk_f16 v151, v68, 0xbb9c, v57
	v_add_f16_e32 v30, v50, v21
	v_sub_f16_e32 v50, v26, v21
	v_lshrrev_b32_e32 v21, 3, v101
	v_fmamk_f16 v168, v69, 0x3b9c, v17
	v_fmac_f16_e32 v17, 0xbb9c, v69
	v_sub_f16_e32 v190, v169, v175
	v_sub_f16_e32 v200, v169, v171
	;; [unrolled: 1-line block ×3, first 2 shown]
	v_fmac_f16_e32 v3, -0.5, v150
	v_fmac_f16_e32 v57, 0x3b9c, v68
	v_fmac_f16_e32 v73, 0xb8b4, v29
	v_add_f16_e32 v18, v18, v19
	v_fmac_f16_e32 v64, 0x38b4, v29
	v_fmac_f16_e32 v151, 0xb8b4, v69
	v_mul_u32_u24_e32 v19, 40, v21
	v_fmac_f16_e32 v168, 0xb8b4, v68
	v_fmac_f16_e32 v17, 0x38b4, v68
	v_add_f16_e32 v162, v169, v203
	v_add_f16_e32 v36, v54, v36
	v_fmamk_f16 v54, v76, 0x3b9c, v66
	v_fmamk_f16 v169, v77, 0xbb9c, v3
	v_fmac_f16_e32 v3, 0x3b9c, v77
	v_fmac_f16_e32 v57, 0x38b4, v69
	;; [unrolled: 1-line block ×4, first 2 shown]
	v_lshrrev_b32_e32 v18, 3, v62
	v_add_f16_e32 v33, v33, v53
	v_fmac_f16_e32 v151, 0x34f2, v58
	v_or_b32_e32 v19, v19, v13
	v_fmac_f16_e32 v168, 0x34f2, v65
	v_fmac_f16_e32 v17, 0x34f2, v65
	;; [unrolled: 1-line block ×5, first 2 shown]
	v_mul_u32_u24_e32 v18, 40, v18
	v_fmac_f16_e32 v169, 0x38b4, v76
	v_add_f16_e32 v37, v149, v167
	v_lshlrev_b32_e32 v149, 2, v19
	v_pack_b32_f16 v19, v33, v48
	v_pack_b32_f16 v21, v164, v151
	v_add_f16_e32 v30, v30, v26
	v_pack_b32_f16 v26, v166, v168
	v_pack_b32_f16 v2, v2, v17
	v_add_f16_e32 v150, v184, v185
	v_fma_f16 v154, -0.5, v189, v1
	v_add_f16_e32 v36, v36, v55
	v_add_f16_e32 v31, v71, v31
	v_fmac_f16_e32 v165, 0xb8b4, v183
	v_fmac_f16_e32 v152, 0x38b4, v183
	;; [unrolled: 1-line block ×4, first 2 shown]
	v_pack_b32_f16 v17, v32, v57
	v_or_b32_e32 v18, v18, v13
	v_fmac_f16_e32 v66, 0xbb9c, v76
	v_fmamk_f16 v38, v172, 0x3b9c, v75
	v_fmac_f16_e32 v169, 0x34f2, v70
	ds_write2_b32 v149, v19, v21 offset1:8
	ds_write2_b32 v149, v26, v2 offset0:16 offset1:24
	v_lshrrev_b32_e32 v2, 3, v61
	v_fmamk_f16 v171, v174, 0xbb9c, v0
	v_fmac_f16_e32 v0, 0x3b9c, v174
	v_fmac_f16_e32 v75, 0xbb9c, v172
	v_fmac_f16_e32 v1, -0.5, v194
	v_fmamk_f16 v49, v190, 0x3b9c, v154
	v_fmac_f16_e32 v165, 0x34f2, v150
	v_fmac_f16_e32 v152, 0x34f2, v150
	ds_write_b32 v149, v17 offset:128
	v_lshlrev_b32_e32 v150, 2, v18
	v_pack_b32_f16 v17, v36, v31
	v_pack_b32_f16 v18, v54, v158
	;; [unrolled: 1-line block ×3, first 2 shown]
	v_lshrrev_b32_e32 v16, 3, v60
	v_fmac_f16_e32 v66, 0xb8b4, v77
	v_fmac_f16_e32 v38, 0x38b4, v174
	v_mul_u32_u24_e32 v2, 40, v2
	v_pack_b32_f16 v19, v169, v170
	v_add_f16_e32 v109, v179, v180
	v_add_f16_e32 v153, v161, v187
	v_fmac_f16_e32 v171, 0x38b4, v172
	v_fmac_f16_e32 v0, 0xb8b4, v172
	;; [unrolled: 1-line block ×3, first 2 shown]
	v_fmamk_f16 v177, v191, 0xbb9c, v1
	v_fmac_f16_e32 v1, 0x3b9c, v191
	v_add_f16_e32 v155, v192, v193
	v_add_f16_e32 v161, v200, v201
	v_fmac_f16_e32 v154, 0xbb9c, v190
	v_fmac_f16_e32 v49, 0x38b4, v191
	v_fmac_f16_e32 v173, 0xb8b4, v199
	ds_write2_b32 v150, v17, v18 offset1:8
	ds_write2_b32 v150, v19, v3 offset0:16 offset1:24
	v_mul_u32_u24_e32 v3, 40, v16
	v_fmac_f16_e32 v66, 0x34f2, v67
	v_fmac_f16_e32 v38, 0x34f2, v78
	v_fmamk_f16 v65, v29, 0xbb9c, v72
	v_or_b32_e32 v2, v2, v13
	v_lshrrev_b32_e32 v18, 3, v59
	v_fmac_f16_e32 v171, 0x34f2, v109
	v_fmac_f16_e32 v0, 0x34f2, v109
	;; [unrolled: 1-line block ×4, first 2 shown]
	v_fmamk_f16 v25, v207, 0xbb9c, v22
	v_fmac_f16_e32 v22, 0x3b9c, v207
	v_fmac_f16_e32 v75, 0x34f2, v78
	;; [unrolled: 1-line block ×3, first 2 shown]
	v_add_f16_e32 v156, v195, v196
	v_fmac_f16_e32 v177, 0x38b4, v190
	v_fmac_f16_e32 v1, 0xb8b4, v190
	;; [unrolled: 1-line block ×3, first 2 shown]
	v_add_f16_e32 v39, v157, v175
	v_fmac_f16_e32 v160, 0x38b4, v199
	v_fmac_f16_e32 v49, 0x34f2, v155
	v_fmac_f16_e32 v173, 0x34f2, v161
	v_or_b32_e32 v3, v3, v13
	v_fmac_f16_e32 v65, 0xb8b4, v27
	v_add_f16_e32 v28, v28, v50
	v_pack_b32_f16 v21, v66, v74
	v_lshlrev_b32_e32 v151, 2, v2
	v_pack_b32_f16 v2, v34, v37
	v_pack_b32_f16 v16, v38, v165
	v_mul_u32_u24_e32 v18, 40, v18
	v_fmac_f16_e32 v25, 0x38b4, v206
	v_fmac_f16_e32 v22, 0xb8b4, v206
	v_pack_b32_f16 v17, v171, v176
	v_pack_b32_f16 v0, v0, v15
	v_fmac_f16_e32 v72, 0x38b4, v27
	v_pack_b32_f16 v15, v75, v152
	v_fmac_f16_e32 v177, 0x34f2, v156
	v_fmac_f16_e32 v1, 0x34f2, v156
	;; [unrolled: 1-line block ×6, first 2 shown]
	v_lshlrev_b32_e32 v152, 2, v3
	v_pack_b32_f16 v3, v35, v39
	v_pack_b32_f16 v19, v49, v173
	v_fmac_f16_e32 v65, 0x34f2, v28
	ds_write_b32 v150, v21 offset:128
	ds_write2_b32 v151, v2, v16 offset1:8
	ds_write2_b32 v151, v17, v0 offset0:16 offset1:24
	ds_write_b32 v151, v15 offset:128
	v_or_b32_e32 v0, v18, v13
	v_fmac_f16_e32 v25, 0x34f2, v46
	v_fmac_f16_e32 v22, 0x34f2, v46
	;; [unrolled: 1-line block ×3, first 2 shown]
	v_pack_b32_f16 v2, v177, v178
	v_pack_b32_f16 v1, v1, v14
	ds_write2_b32 v152, v3, v19 offset1:8
	v_pack_b32_f16 v3, v154, v160
	v_lshlrev_b32_e32 v153, 2, v0
	v_pack_b32_f16 v0, v45, v30
	v_pack_b32_f16 v13, v24, v65
	;; [unrolled: 1-line block ×5, first 2 shown]
	ds_write2_b32 v152, v2, v1 offset0:16 offset1:24
	ds_write_b32 v152, v3 offset:128
	ds_write2_b32 v153, v0, v13 offset1:8
	ds_write2_b32 v153, v14, v15 offset0:16 offset1:24
	ds_write_b32 v153, v16 offset:128
	s_waitcnt lgkmcnt(0)
	s_barrier
	buffer_gl0_inv
	ds_read2_b32 v[28:29], v79 offset1:56
	ds_read2_b32 v[26:27], v79 offset0:112 offset1:200
	ds_read2_b32 v[34:35], v11 offset0:144 offset1:200
	ds_read2_b32 v[30:31], v10 offset1:88
	ds_read2_b32 v[36:37], v12 offset0:32 offset1:88
	ds_read2_b32 v[32:33], v12 offset0:144 offset1:232
	;; [unrolled: 1-line block ×3, first 2 shown]
	ds_read2_b32 v[57:58], v11 offset1:56
	ds_read2_b32 v[53:54], v10 offset0:144 offset1:200
	ds_read2_b32 v[38:39], v9 offset0:32 offset1:88
	ds_read_b32 v74, v79 offset:5248
                                        ; implicit-def: $vgpr76
                                        ; implicit-def: $vgpr75
                                        ; implicit-def: $vgpr77
	s_and_saveexec_b32 s1, s0
	s_cbranch_execz .LBB0_17
; %bb.16:
	v_add_nc_u32_e32 v0, 0x880, v79
	v_add_nc_u32_e32 v1, 0xf00, v79
	ds_read2_b32 v[24:25], v8 offset0:40 offset1:240
	ds_read2_b32 v[22:23], v0 offset0:24 offset1:224
	;; [unrolled: 1-line block ×3, first 2 shown]
	ds_read_b32 v75, v79 offset:5472
	s_waitcnt lgkmcnt(3)
	v_lshrrev_b32_e32 v65, 16, v24
	v_lshrrev_b32_e32 v73, 16, v25
	s_waitcnt lgkmcnt(2)
	v_lshrrev_b32_e32 v64, 16, v22
	v_lshrrev_b32_e32 v72, 16, v23
	;; [unrolled: 3-line block ×3, first 2 shown]
	s_waitcnt lgkmcnt(0)
	v_lshrrev_b32_e32 v77, 16, v75
.LBB0_17:
	s_or_b32 exec_lo, exec_lo, s1
	v_subrev_nc_u32_e32 v0, 40, v101
	v_cmp_gt_u16_e64 s1, 40, v101
	s_waitcnt lgkmcnt(9)
	v_lshrrev_b32_e32 v78, 16, v27
	s_waitcnt lgkmcnt(8)
	v_lshrrev_b32_e32 v154, 16, v34
	;; [unrolled: 2-line block ×4, first 2 shown]
	v_cndmask_b32_e64 v66, v0, v101, s1
	s_waitcnt lgkmcnt(5)
	v_lshrrev_b32_e32 v157, 16, v33
	s_waitcnt lgkmcnt(4)
	v_lshrrev_b32_e32 v158, 16, v55
	;; [unrolled: 2-line block ×3, first 2 shown]
	v_lshrrev_b32_e32 v160, 16, v35
	v_mul_i32_i24_e32 v0, 24, v66
	v_mul_hi_i32_i24_e32 v1, 24, v66
	s_waitcnt lgkmcnt(2)
	v_lshrrev_b32_e32 v161, 16, v53
	v_lshrrev_b32_e32 v162, 16, v37
	s_waitcnt lgkmcnt(1)
	v_lshrrev_b32_e32 v163, 16, v38
	v_add_co_u32 v0, s1, s2, v0
	v_add_co_ci_u32_e64 v1, s1, s3, v1, s1
	v_lshrrev_b32_e32 v164, 16, v56
	v_lshrrev_b32_e32 v165, 16, v58
	s_clause 0x1
	global_load_dwordx4 v[8:11], v[0:1], off offset:152
	global_load_dwordx2 v[47:48], v[0:1], off offset:168
	v_and_b32_e32 v0, 0xff, v62
	v_lshrrev_b32_e32 v166, 16, v30
	v_lshrrev_b32_e32 v169, 16, v39
	s_waitcnt lgkmcnt(0)
	v_lshrrev_b32_e32 v170, 16, v74
	v_lshrrev_b32_e32 v167, 16, v54
	v_mul_lo_u16 v0, 0xcd, v0
	v_lshrrev_b32_e32 v168, 16, v32
	v_cmp_lt_u16_e64 s1, 39, v101
	v_lshrrev_b16 v67, 13, v0
	v_and_b32_e32 v0, 0xff, v61
	v_mul_lo_u16 v1, v67, 40
	v_mul_lo_u16 v0, 0xcd, v0
	v_sub_nc_u16 v1, v62, v1
	v_lshrrev_b16 v68, 13, v0
	v_and_b32_e32 v0, 0xff, v60
	v_and_b32_e32 v71, 0xff, v1
	v_mul_lo_u16 v2, v68, 40
	v_mul_lo_u16 v3, 0xcd, v0
	v_mad_u64_u32 v[0:1], null, v71, 24, s[2:3]
	v_lshrrev_b16 v3, 13, v3
	v_sub_nc_u16 v2, v61, v2
	v_mul_lo_u16 v12, v3, 40
	v_and_b32_e32 v70, 0xff, v2
	s_clause 0x1
	global_load_dwordx4 v[16:19], v[0:1], off offset:152
	global_load_dwordx2 v[51:52], v[0:1], off offset:168
	v_sub_nc_u16 v109, v60, v12
	v_mad_u64_u32 v[2:3], null, v70, 24, s[2:3]
	v_and_b32_e32 v69, 0xff, v109
	global_load_dwordx4 v[12:15], v[2:3], off offset:152
	v_mad_u64_u32 v[45:46], null, v69, 24, s[2:3]
	s_clause 0x2
	global_load_dwordx2 v[49:50], v[2:3], off offset:168
	global_load_dwordx4 v[0:3], v[45:46], off offset:152
	global_load_dwordx2 v[45:46], v[45:46], off offset:168
	s_waitcnt vmcnt(0)
	s_barrier
	buffer_gl0_inv
	v_mul_f16_sdwa v171, v78, v8 dst_sel:DWORD dst_unused:UNUSED_PAD src0_sel:DWORD src1_sel:WORD_1
	v_mul_f16_sdwa v172, v27, v8 dst_sel:DWORD dst_unused:UNUSED_PAD src0_sel:DWORD src1_sel:WORD_1
	;; [unrolled: 1-line block ×12, first 2 shown]
	v_fma_f16 v27, v27, v8, -v171
	v_fmac_f16_e32 v172, v78, v8
	v_fma_f16 v34, v34, v9, -v173
	v_fmac_f16_e32 v174, v154, v9
	;; [unrolled: 2-line block ×3, first 2 shown]
	v_fma_f16 v36, v36, v11, -v177
	v_fma_f16 v55, v55, v48, -v181
	v_fmac_f16_e32 v182, v158, v48
	v_fmac_f16_e32 v178, v156, v11
	v_fma_f16 v33, v33, v47, -v179
	v_fmac_f16_e32 v180, v157, v47
	v_add_f16_e32 v78, v27, v55
	v_add_f16_e32 v154, v172, v182
	v_sub_f16_e32 v27, v27, v55
	v_sub_f16_e32 v55, v172, v182
	v_add_f16_e32 v155, v34, v33
	v_add_f16_e32 v156, v174, v180
	v_sub_f16_e32 v33, v34, v33
	v_sub_f16_e32 v34, v174, v180
	v_add_f16_e32 v157, v31, v36
	v_add_f16_e32 v158, v176, v178
	v_sub_f16_e32 v31, v36, v31
	v_sub_f16_e32 v36, v178, v176
	v_add_f16_e32 v171, v155, v78
	v_add_f16_e32 v172, v156, v154
	v_sub_f16_e32 v173, v155, v78
	v_sub_f16_e32 v174, v156, v154
	v_sub_f16_e32 v78, v78, v157
	v_sub_f16_e32 v154, v154, v158
	v_add_f16_e32 v175, v31, v33
	v_add_f16_e32 v176, v36, v34
	v_sub_f16_e32 v177, v31, v33
	v_sub_f16_e32 v178, v36, v34
	;; [unrolled: 1-line block ×4, first 2 shown]
	v_mul_f16_sdwa v179, v159, v16 dst_sel:DWORD dst_unused:UNUSED_PAD src0_sel:DWORD src1_sel:WORD_1
	v_mul_f16_sdwa v180, v57, v16 dst_sel:DWORD dst_unused:UNUSED_PAD src0_sel:DWORD src1_sel:WORD_1
	v_mul_f16_sdwa v181, v160, v17 dst_sel:DWORD dst_unused:UNUSED_PAD src0_sel:DWORD src1_sel:WORD_1
	v_mul_f16_sdwa v182, v35, v17 dst_sel:DWORD dst_unused:UNUSED_PAD src0_sel:DWORD src1_sel:WORD_1
	v_mul_f16_sdwa v183, v161, v18 dst_sel:DWORD dst_unused:UNUSED_PAD src0_sel:DWORD src1_sel:WORD_1
	v_mul_f16_sdwa v184, v53, v18 dst_sel:DWORD dst_unused:UNUSED_PAD src0_sel:DWORD src1_sel:WORD_1
	v_mul_f16_sdwa v185, v162, v19 dst_sel:DWORD dst_unused:UNUSED_PAD src0_sel:DWORD src1_sel:WORD_1
	v_mul_f16_sdwa v186, v37, v19 dst_sel:DWORD dst_unused:UNUSED_PAD src0_sel:DWORD src1_sel:WORD_1
	v_mul_f16_sdwa v187, v163, v51 dst_sel:DWORD dst_unused:UNUSED_PAD src0_sel:DWORD src1_sel:WORD_1
	v_mul_f16_sdwa v188, v38, v51 dst_sel:DWORD dst_unused:UNUSED_PAD src0_sel:DWORD src1_sel:WORD_1
	v_mul_f16_sdwa v189, v164, v52 dst_sel:DWORD dst_unused:UNUSED_PAD src0_sel:DWORD src1_sel:WORD_1
	v_mul_f16_sdwa v190, v56, v52 dst_sel:DWORD dst_unused:UNUSED_PAD src0_sel:DWORD src1_sel:WORD_1
	v_mul_f16_sdwa v191, v165, v12 dst_sel:DWORD dst_unused:UNUSED_PAD src0_sel:DWORD src1_sel:WORD_1
	v_mul_f16_sdwa v193, v166, v13 dst_sel:DWORD dst_unused:UNUSED_PAD src0_sel:DWORD src1_sel:WORD_1
	v_mul_f16_sdwa v199, v169, v49 dst_sel:DWORD dst_unused:UNUSED_PAD src0_sel:DWORD src1_sel:WORD_1
	v_mul_f16_sdwa v201, v170, v50 dst_sel:DWORD dst_unused:UNUSED_PAD src0_sel:DWORD src1_sel:WORD_1
	v_sub_f16_e32 v155, v157, v155
	v_sub_f16_e32 v156, v158, v156
	;; [unrolled: 1-line block ×4, first 2 shown]
	v_mul_f16_sdwa v192, v58, v12 dst_sel:DWORD dst_unused:UNUSED_PAD src0_sel:DWORD src1_sel:WORD_1
	v_mul_f16_sdwa v194, v30, v13 dst_sel:DWORD dst_unused:UNUSED_PAD src0_sel:DWORD src1_sel:WORD_1
	;; [unrolled: 1-line block ×12, first 2 shown]
	v_add_f16_e32 v157, v157, v171
	v_add_f16_e32 v158, v158, v172
	;; [unrolled: 1-line block ×4, first 2 shown]
	v_mul_f16_e32 v78, 0x3a52, v78
	v_mul_f16_e32 v154, 0x3a52, v154
	;; [unrolled: 1-line block ×6, first 2 shown]
	v_fma_f16 v57, v57, v16, -v179
	v_fmac_f16_e32 v180, v159, v16
	v_fma_f16 v35, v35, v17, -v181
	v_fmac_f16_e32 v182, v160, v17
	v_fma_f16 v53, v53, v18, -v183
	v_fmac_f16_e32 v184, v161, v18
	v_fma_f16 v37, v37, v19, -v185
	v_fmac_f16_e32 v186, v162, v19
	v_fma_f16 v38, v38, v51, -v187
	v_fmac_f16_e32 v188, v163, v51
	v_fma_f16 v56, v56, v52, -v189
	v_fmac_f16_e32 v190, v164, v52
	v_fma_f16 v58, v58, v12, -v191
	v_fma_f16 v30, v30, v13, -v193
	;; [unrolled: 1-line block ×4, first 2 shown]
	v_mul_f16_sdwa v203, v73, v0 dst_sel:DWORD dst_unused:UNUSED_PAD src0_sel:DWORD src1_sel:WORD_1
	v_mul_f16_sdwa v205, v64, v1 dst_sel:DWORD dst_unused:UNUSED_PAD src0_sel:DWORD src1_sel:WORD_1
	;; [unrolled: 1-line block ×6, first 2 shown]
	v_mul_f16_e32 v171, 0x2b26, v155
	v_mul_f16_e32 v172, 0x2b26, v156
	v_fmac_f16_e32 v192, v165, v12
	v_fmac_f16_e32 v194, v166, v13
	v_fma_f16 v54, v54, v14, -v195
	v_fmac_f16_e32 v196, v167, v14
	v_fma_f16 v32, v32, v15, -v197
	v_fmac_f16_e32 v198, v168, v15
	v_fmac_f16_e32 v200, v169, v49
	;; [unrolled: 1-line block ×7, first 2 shown]
	v_add_f16_e32 v64, v28, v157
	v_add_f16_sdwa v72, v28, v158 dst_sel:DWORD dst_unused:UNUSED_PAD src0_sel:WORD_1 src1_sel:DWORD
	v_fmamk_f16 v28, v155, 0x2b26, v78
	v_fmamk_f16 v73, v156, 0x2b26, v154
	v_fma_f16 v77, v173, 0xb9e0, -v78
	v_fma_f16 v78, v174, 0xb9e0, -v154
	v_fmamk_f16 v154, v31, 0x3574, v175
	v_fmamk_f16 v155, v36, 0x3574, v176
	v_fma_f16 v33, v33, 0x3b00, -v175
	v_fma_f16 v34, v34, 0x3b00, -v176
	;; [unrolled: 1-line block ×4, first 2 shown]
	v_add_f16_e32 v156, v57, v56
	v_add_f16_e32 v159, v180, v190
	v_sub_f16_e32 v56, v57, v56
	v_add_f16_e32 v160, v35, v38
	v_add_f16_e32 v161, v182, v188
	v_sub_f16_e32 v35, v35, v38
	;; [unrolled: 3-line block ×3, first 2 shown]
	v_add_f16_e32 v164, v58, v74
	v_add_f16_e32 v166, v30, v39
	v_mul_f16_sdwa v209, v63, v3 dst_sel:DWORD dst_unused:UNUSED_PAD src0_sel:DWORD src1_sel:WORD_1
	v_mul_f16_sdwa v211, v76, v45 dst_sel:DWORD dst_unused:UNUSED_PAD src0_sel:DWORD src1_sel:WORD_1
	v_fmac_f16_e32 v210, v63, v3
	v_fmac_f16_e32 v212, v76, v45
	v_fma_f16 v63, v75, v46, -v213
	v_fma_f16 v75, v173, 0x39e0, -v171
	;; [unrolled: 1-line block ×3, first 2 shown]
	v_sub_f16_e32 v57, v180, v190
	v_sub_f16_e32 v38, v182, v188
	;; [unrolled: 1-line block ×3, first 2 shown]
	v_add_f16_e32 v165, v192, v202
	v_add_f16_e32 v167, v194, v200
	v_sub_f16_e32 v30, v30, v39
	v_sub_f16_e32 v39, v194, v200
	v_add_f16_e32 v168, v54, v32
	v_sub_f16_e32 v32, v32, v54
	v_sub_f16_e32 v54, v198, v196
	v_fmamk_f16 v157, v157, 0xbcab, v64
	v_fmamk_f16 v158, v158, 0xbcab, v72
	v_fmac_f16_e32 v154, 0x370e, v27
	v_fmac_f16_e32 v155, 0x370e, v55
	;; [unrolled: 1-line block ×6, first 2 shown]
	v_add_f16_e32 v27, v160, v156
	v_add_f16_e32 v55, v161, v159
	v_sub_f16_e32 v172, v160, v156
	v_sub_f16_e32 v173, v161, v159
	;; [unrolled: 1-line block ×4, first 2 shown]
	v_add_f16_e32 v174, v37, v35
	v_sub_f16_e32 v176, v37, v35
	v_sub_f16_e32 v35, v35, v56
	v_add_f16_e32 v178, v166, v164
	v_sub_f16_e32 v58, v58, v74
	v_sub_f16_e32 v74, v192, v202
	;; [unrolled: 3-line block ×4, first 2 shown]
	v_sub_f16_e32 v38, v38, v57
	v_add_f16_e32 v179, v167, v165
	v_sub_f16_e32 v180, v166, v164
	v_sub_f16_e32 v164, v164, v168
	;; [unrolled: 1-line block ×5, first 2 shown]
	v_add_f16_e32 v28, v28, v157
	v_add_f16_e32 v73, v73, v158
	;; [unrolled: 1-line block ×9, first 2 shown]
	v_mul_f16_e32 v156, 0x3a52, v156
	v_mul_f16_e32 v157, 0x3a52, v159
	;; [unrolled: 1-line block ×4, first 2 shown]
	v_add_f16_e32 v168, v168, v178
	v_sub_f16_e32 v53, v57, v53
	v_sub_f16_e32 v181, v167, v165
	;; [unrolled: 1-line block ×4, first 2 shown]
	v_add_f16_e32 v182, v32, v30
	v_add_f16_e32 v183, v54, v39
	v_sub_f16_e32 v54, v74, v54
	v_sub_f16_e32 v30, v30, v58
	;; [unrolled: 1-line block ×3, first 2 shown]
	v_add_f16_e32 v57, v175, v57
	v_mul_f16_e32 v158, 0x2b26, v160
	v_mul_f16_e32 v159, 0x2b26, v161
	;; [unrolled: 1-line block ×4, first 2 shown]
	v_add_f16_e32 v169, v169, v179
	v_mul_f16_e32 v164, 0x3a52, v164
	v_mul_f16_e32 v178, 0xb846, v184
	;; [unrolled: 1-line block ×3, first 2 shown]
	v_add_f16_e32 v184, v155, v28
	v_sub_f16_e32 v185, v73, v154
	v_add_f16_e32 v186, v36, v77
	v_sub_f16_e32 v187, v78, v31
	v_sub_f16_e32 v188, v75, v34
	v_add_f16_e32 v189, v33, v76
	v_add_f16_e32 v34, v34, v75
	v_sub_f16_e32 v75, v76, v33
	v_sub_f16_e32 v36, v77, v36
	v_add_f16_e32 v76, v31, v78
	v_sub_f16_e32 v77, v28, v155
	v_add_f16_e32 v73, v154, v73
	v_add_f16_e32 v78, v29, v27
	v_add_f16_sdwa v190, v29, v55 dst_sel:DWORD dst_unused:UNUSED_PAD src0_sel:WORD_1 src1_sel:DWORD
	v_fmamk_f16 v28, v160, 0x2b26, v156
	v_fmamk_f16 v29, v161, 0x2b26, v157
	v_fma_f16 v154, v172, 0xb9e0, -v156
	v_fmamk_f16 v156, v37, 0x3574, v162
	v_fma_f16 v35, v35, 0x3b00, -v162
	v_fma_f16 v37, v37, 0xb574, -v174
	v_add_f16_e32 v161, v26, v168
	v_sub_f16_e32 v32, v58, v32
	v_add_f16_e32 v58, v182, v58
	v_add_f16_e32 v74, v183, v74
	v_mul_f16_e32 v165, 0x3a52, v165
	v_mul_f16_e32 v176, 0x2b26, v166
	;; [unrolled: 1-line block ×5, first 2 shown]
	v_fma_f16 v31, v172, 0x39e0, -v158
	v_fma_f16 v155, v173, 0xb9e0, -v157
	v_fmamk_f16 v157, v53, 0x3574, v163
	v_fma_f16 v38, v38, 0x3b00, -v163
	v_fma_f16 v53, v53, 0xb574, -v175
	v_add_f16_sdwa v162, v26, v169 dst_sel:DWORD dst_unused:UNUSED_PAD src0_sel:WORD_1 src1_sel:DWORD
	v_fmamk_f16 v26, v166, 0x2b26, v164
	v_fmamk_f16 v166, v54, 0x3574, v179
	v_fmamk_f16 v27, v27, 0xbcab, v78
	v_fmac_f16_e32 v156, 0x370e, v56
	v_fmac_f16_e32 v35, 0x370e, v56
	;; [unrolled: 1-line block ×3, first 2 shown]
	v_fmamk_f16 v56, v168, 0xbcab, v161
	v_fma_f16 v25, v25, v0, -v203
	v_fma_f16 v22, v22, v1, -v205
	v_fma_f16 v21, v21, v45, -v211
	v_fma_f16 v33, v173, 0x39e0, -v159
	v_fmamk_f16 v158, v167, 0x2b26, v165
	v_fma_f16 v159, v180, 0x39e0, -v176
	v_fma_f16 v160, v181, 0x39e0, -v177
	v_fma_f16 v163, v180, 0xb9e0, -v164
	v_fma_f16 v164, v181, 0xb9e0, -v165
	;; [unrolled: 5-line block ×3, first 2 shown]
	v_fmamk_f16 v55, v55, 0xbcab, v190
	v_fmac_f16_e32 v157, 0x370e, v57
	v_fmac_f16_e32 v38, 0x370e, v57
	;; [unrolled: 1-line block ×3, first 2 shown]
	v_fmamk_f16 v57, v169, 0xbcab, v162
	v_fmac_f16_e32 v166, 0x370e, v74
	v_add_f16_e32 v28, v28, v27
	v_add_f16_e32 v31, v31, v27
	;; [unrolled: 1-line block ×4, first 2 shown]
	v_fma_f16 v23, v23, v2, -v207
	v_fma_f16 v20, v20, v3, -v209
	v_add_f16_e32 v170, v25, v63
	v_add_f16_e32 v171, v204, v214
	v_fmac_f16_e32 v165, 0x370e, v58
	v_fmac_f16_e32 v30, 0x370e, v58
	;; [unrolled: 1-line block ×5, first 2 shown]
	v_add_f16_e32 v29, v29, v55
	v_add_f16_e32 v33, v33, v55
	;; [unrolled: 1-line block ×8, first 2 shown]
	v_sub_f16_e32 v172, v27, v53
	v_add_f16_e32 v174, v166, v26
	v_sub_f16_e32 v166, v26, v166
	v_add_f16_e32 v26, v22, v21
	v_add_f16_e32 v27, v206, v212
	v_sub_f16_e32 v25, v25, v63
	v_sub_f16_e32 v63, v204, v214
	v_add_f16_e32 v56, v163, v56
	v_add_f16_e32 v159, v157, v28
	v_sub_f16_e32 v163, v29, v156
	v_sub_f16_e32 v167, v55, v37
	v_sub_f16_e32 v168, v31, v38
	v_add_f16_e32 v38, v38, v31
	v_add_f16_e32 v37, v37, v55
	v_sub_f16_e32 v55, v28, v157
	v_add_f16_e32 v173, v156, v29
	v_sub_f16_e32 v178, v74, v39
	v_add_f16_e32 v179, v30, v154
	v_add_f16_e32 v39, v39, v74
	v_sub_f16_e32 v74, v154, v30
	v_sub_f16_e32 v21, v22, v21
	;; [unrolled: 1-line block ×3, first 2 shown]
	v_add_f16_e32 v28, v23, v20
	v_add_f16_e32 v29, v208, v210
	v_sub_f16_e32 v20, v20, v23
	v_sub_f16_e32 v23, v210, v208
	v_add_f16_e32 v30, v26, v170
	v_add_f16_e32 v31, v27, v171
	;; [unrolled: 1-line block ×3, first 2 shown]
	v_sub_f16_e32 v35, v33, v35
	v_add_f16_e32 v176, v54, v56
	v_sub_f16_e32 v177, v57, v32
	v_sub_f16_e32 v56, v56, v54
	v_add_f16_e32 v57, v32, v57
	v_sub_f16_e32 v32, v26, v170
	v_sub_f16_e32 v33, v27, v171
	;; [unrolled: 1-line block ×6, first 2 shown]
	v_add_f16_e32 v154, v20, v21
	v_add_f16_e32 v155, v23, v22
	v_sub_f16_e32 v157, v23, v22
	v_sub_f16_e32 v160, v63, v23
	v_add_f16_e32 v23, v28, v30
	v_add_f16_e32 v28, v29, v31
	v_sub_f16_e32 v22, v22, v63
	v_sub_f16_e32 v175, v58, v165
	v_add_f16_e32 v58, v165, v58
	v_sub_f16_e32 v156, v20, v21
	v_sub_f16_e32 v158, v25, v20
	;; [unrolled: 1-line block ×3, first 2 shown]
	v_add_f16_e32 v154, v154, v25
	v_add_f16_e32 v20, v24, v23
	;; [unrolled: 1-line block ×3, first 2 shown]
	v_mul_f16_e32 v24, 0x3a52, v53
	v_mul_f16_e32 v25, 0x3a52, v54
	;; [unrolled: 1-line block ×5, first 2 shown]
	v_add_f16_e32 v63, v155, v63
	v_mul_f16_e32 v29, 0x2b26, v26
	v_fmamk_f16 v26, v26, 0x2b26, v24
	v_fmamk_f16 v157, v27, 0x2b26, v25
	v_fma_f16 v171, v33, 0x39e0, -v30
	v_fma_f16 v180, v32, 0xb9e0, -v24
	;; [unrolled: 1-line block ×3, first 2 shown]
	v_fmamk_f16 v24, v160, 0x3574, v53
	v_fma_f16 v22, v22, 0x3b00, -v53
	v_fma_f16 v25, v160, 0xb574, -v65
	v_mul_f16_e32 v31, 0xb846, v156
	v_fmamk_f16 v156, v28, 0xbcab, v21
	v_fmac_f16_e32 v24, 0x370e, v63
	v_fmac_f16_e32 v22, 0x370e, v63
	;; [unrolled: 1-line block ×3, first 2 shown]
	v_cndmask_b32_e64 v63, 0, 0x118, s1
	v_mul_f16_e32 v54, 0x3b00, v165
	v_add_f16_e32 v30, v157, v156
	v_pack_b32_f16 v65, v186, v187
	v_pack_b32_f16 v34, v34, v75
	v_add_lshl_u32 v157, v66, v63, 2
	v_pack_b32_f16 v63, v64, v72
	v_pack_b32_f16 v64, v184, v185
	v_mov_b32_e32 v66, 0x118
	v_pack_b32_f16 v72, v188, v189
	v_pack_b32_f16 v36, v36, v76
	v_fmamk_f16 v155, v23, 0xbcab, v20
	v_fma_f16 v170, v32, 0x39e0, -v29
	v_fmamk_f16 v23, v158, 0x3574, v31
	v_fma_f16 v28, v165, 0x3b00, -v31
	v_fma_f16 v29, v158, 0xb574, -v54
	v_mul_u32_u24_sdwa v67, v67, v66 dst_sel:DWORD dst_unused:UNUSED_PAD src0_sel:WORD_0 src1_sel:DWORD
	ds_write2_b32 v157, v63, v64 offset1:40
	ds_write2_b32 v157, v65, v72 offset0:80 offset1:120
	ds_write2_b32 v157, v34, v36 offset0:160 offset1:200
	v_pack_b32_f16 v34, v77, v73
	v_add_f16_e32 v27, v26, v155
	v_add_f16_e32 v26, v170, v155
	;; [unrolled: 1-line block ×5, first 2 shown]
	v_fmac_f16_e32 v23, 0x370e, v154
	v_fmac_f16_e32 v28, 0x370e, v154
	;; [unrolled: 1-line block ×3, first 2 shown]
	v_add_lshl_u32 v158, v67, v71, 2
	v_pack_b32_f16 v36, v78, v190
	v_pack_b32_f16 v63, v159, v163
	ds_write_b32 v157, v34 offset:960
	v_mul_u32_u24_sdwa v34, v68, v66 dst_sel:DWORD dst_unused:UNUSED_PAD src0_sel:WORD_0 src1_sel:DWORD
	v_pack_b32_f16 v64, v164, v167
	v_pack_b32_f16 v65, v168, v169
	;; [unrolled: 1-line block ×4, first 2 shown]
	v_add_f16_e32 v53, v22, v26
	v_sub_f16_e32 v160, v32, v28
	v_sub_f16_e32 v54, v31, v25
	v_add_f16_e32 v154, v29, v33
	v_sub_f16_e32 v155, v27, v24
	v_add_f16_e32 v156, v23, v30
	ds_write2_b32 v158, v36, v63 offset1:40
	ds_write2_b32 v158, v64, v65 offset0:80 offset1:120
	ds_write2_b32 v158, v35, v37 offset0:160 offset1:200
	v_pack_b32_f16 v35, v55, v173
	v_add_lshl_u32 v159, v34, v70, 2
	v_pack_b32_f16 v34, v161, v162
	v_pack_b32_f16 v36, v174, v175
	;; [unrolled: 1-line block ×7, first 2 shown]
	ds_write_b32 v158, v35 offset:960
	ds_write2_b32 v159, v34, v36 offset1:40
	ds_write2_b32 v159, v37, v38 offset0:80 offset1:120
	ds_write2_b32 v159, v39, v55 offset0:160 offset1:200
	ds_write_b32 v159, v56 offset:960
	s_and_saveexec_b32 s1, s0
	s_cbranch_execz .LBB0_19
; %bb.18:
	v_sub_f16_e32 v23, v30, v23
	v_add_f16_e32 v24, v24, v27
	v_lshlrev_b32_e32 v27, 2, v69
	v_add_f16_e32 v28, v28, v32
	v_sub_f16_e32 v29, v33, v29
	v_add_f16_e32 v25, v25, v31
	v_sub_f16_e32 v22, v26, v22
	v_perm_b32 v20, v21, v20, 0x5040100
	v_pack_b32_f16 v21, v24, v23
	v_add_nc_u32_e32 v23, 0x1000, v27
	v_pack_b32_f16 v24, v25, v29
	v_pack_b32_f16 v22, v22, v28
	v_perm_b32 v25, v160, v53, 0x5040100
	v_perm_b32 v26, v154, v54, 0x5040100
	v_add_nc_u32_e32 v28, 0x1400, v27
	v_perm_b32 v29, v156, v155, 0x5040100
	ds_write2_b32 v23, v20, v21 offset0:96 offset1:136
	ds_write2_b32 v23, v24, v22 offset0:176 offset1:216
	ds_write2_b32 v28, v25, v26 offset1:40
	ds_write_b32 v27, v29 offset:5440
.LBB0_19:
	s_or_b32 exec_lo, exec_lo, s1
	v_lshlrev_b32_e32 v20, 4, v101
	v_lshlrev_b32_e32 v24, 4, v62
	s_waitcnt lgkmcnt(0)
	s_barrier
	buffer_gl0_inv
	s_clause 0x1
	global_load_dwordx4 v[20:23], v20, s[2:3] offset:1112
	global_load_dwordx4 v[24:27], v24, s[2:3] offset:1112
	v_add_nc_u32_e32 v62, 0x200, v79
	v_add_nc_u32_e32 v69, 0x800, v79
	;; [unrolled: 1-line block ×5, first 2 shown]
	ds_read2_b32 v[28:29], v79 offset1:56
	ds_read2_b32 v[55:56], v62 offset0:96 offset1:152
	ds_read2_b32 v[32:33], v69 offset0:48 offset1:104
	;; [unrolled: 1-line block ×6, first 2 shown]
	s_waitcnt lgkmcnt(5)
	v_lshrrev_b32_e32 v63, 16, v56
	s_waitcnt lgkmcnt(4)
	v_lshrrev_b32_e32 v64, 16, v32
	v_lshrrev_b32_e32 v72, 16, v33
	s_waitcnt lgkmcnt(2)
	v_lshrrev_b32_e32 v66, 16, v30
	s_waitcnt lgkmcnt(1)
	;; [unrolled: 2-line block ×3, first 2 shown]
	v_lshrrev_b32_e32 v73, 16, v35
	v_lshrrev_b32_e32 v74, 16, v31
	;; [unrolled: 1-line block ×6, first 2 shown]
	s_waitcnt vmcnt(1)
	v_mul_f16_sdwa v77, v64, v21 dst_sel:DWORD dst_unused:UNUSED_PAD src0_sel:DWORD src1_sel:WORD_1
	v_mul_f16_sdwa v163, v66, v23 dst_sel:DWORD dst_unused:UNUSED_PAD src0_sel:DWORD src1_sel:WORD_1
	s_waitcnt vmcnt(0)
	v_mul_f16_sdwa v165, v71, v24 dst_sel:DWORD dst_unused:UNUSED_PAD src0_sel:DWORD src1_sel:WORD_1
	v_mul_f16_sdwa v166, v37, v24 dst_sel:DWORD dst_unused:UNUSED_PAD src0_sel:DWORD src1_sel:WORD_1
	;; [unrolled: 1-line block ×14, first 2 shown]
	v_fma_f16 v32, v32, v21, -v77
	v_fma_f16 v30, v30, v23, -v163
	v_fma_f16 v37, v37, v24, -v165
	v_fmac_f16_e32 v166, v71, v24
	v_fma_f16 v77, v33, v25, -v167
	v_fmac_f16_e32 v168, v72, v25
	v_fma_f16 v163, v35, v26, -v169
	v_fma_f16 v165, v31, v27, -v171
	v_fmac_f16_e32 v170, v73, v26
	v_fmac_f16_e32 v172, v74, v27
	;; [unrolled: 1-line block ×6, first 2 shown]
	v_fma_f16 v31, v56, v20, -v75
	v_fma_f16 v33, v58, v22, -v161
	v_sub_f16_e32 v63, v77, v37
	v_sub_f16_e32 v64, v163, v165
	v_add_f16_e32 v66, v168, v170
	v_sub_f16_e32 v72, v168, v166
	v_sub_f16_e32 v73, v170, v172
	v_add_f16_e32 v71, v166, v172
	v_add_f16_e32 v74, v28, v31
	v_sub_f16_e32 v75, v31, v32
	v_sub_f16_e32 v161, v30, v33
	v_add_f16_e32 v169, v63, v64
	v_sub_f16_e32 v63, v76, v78
	v_fma_f16 v171, -0.5, v66, v34
	v_sub_f16_e32 v64, v164, v162
	v_add_f16_e32 v173, v72, v73
	v_add_f16_e32 v66, v78, v162
	;; [unrolled: 1-line block ×6, first 2 shown]
	v_fmac_f16_e32 v34, -0.5, v71
	v_add_f16_e32 v71, v75, v161
	v_add_f16_e32 v73, v39, v76
	;; [unrolled: 1-line block ×3, first 2 shown]
	v_sub_f16_e32 v64, v78, v76
	v_fma_f16 v75, -0.5, v66, v39
	v_fmac_f16_e32 v39, -0.5, v72
	v_sub_f16_e32 v66, v162, v164
	v_add_f16_e32 v72, v74, v32
	v_add_f16_e32 v35, v29, v37
	v_sub_f16_e32 v167, v32, v31
	v_fma_f16 v56, -0.5, v56, v29
	v_fmac_f16_e32 v29, -0.5, v58
	v_sub_f16_e32 v58, v33, v30
	v_add_f16_e32 v64, v64, v66
	v_add_f16_e32 v66, v32, v33
	v_sub_f16_e32 v32, v32, v33
	v_add_f16_e32 v33, v72, v33
	v_add_f16_e32 v72, v31, v30
	v_sub_f16_e32 v74, v76, v164
	v_add_f16_e32 v73, v73, v78
	v_fma_f16 v76, -0.5, v66, v28
	v_sub_f16_e32 v66, v78, v162
	v_fma_f16 v28, -0.5, v72, v28
	v_sub_f16_e32 v31, v31, v30
	v_add_f16_e32 v72, v73, v162
	v_fmamk_f16 v73, v74, 0x3b9c, v76
	v_fmac_f16_e32 v76, 0xbb9c, v74
	v_add_f16_e32 v30, v33, v30
	v_fmamk_f16 v33, v66, 0xbb9c, v28
	v_fmac_f16_e32 v28, 0x3b9c, v66
	v_fmac_f16_e32 v73, 0x38b4, v66
	;; [unrolled: 1-line block ×3, first 2 shown]
	v_sub_f16_e32 v78, v168, v170
	v_fmac_f16_e32 v33, 0x38b4, v74
	v_fmac_f16_e32 v28, 0xb8b4, v74
	v_fmamk_f16 v66, v31, 0xbb9c, v75
	v_fmac_f16_e32 v75, 0x3b9c, v31
	v_fmamk_f16 v74, v32, 0x3b9c, v39
	v_fmac_f16_e32 v39, 0xbb9c, v32
	v_sub_f16_e32 v162, v77, v163
	v_add_f16_e32 v58, v167, v58
	v_add_f16_e32 v72, v72, v164
	v_fmac_f16_e32 v66, 0xb8b4, v32
	v_fmac_f16_e32 v75, 0x38b4, v32
	;; [unrolled: 1-line block ×4, first 2 shown]
	v_sub_f16_e32 v164, v166, v172
	v_sub_f16_e32 v167, v37, v165
	v_add_f16_e32 v31, v35, v77
	v_add_f16_e32 v32, v65, v168
	v_fmamk_f16 v174, v78, 0xbb9c, v29
	v_fmac_f16_e32 v29, 0x3b9c, v78
	v_fmamk_f16 v175, v162, 0x3b9c, v34
	v_fmac_f16_e32 v34, 0xbb9c, v162
	v_add_f16_e32 v31, v31, v163
	v_add_f16_e32 v32, v32, v170
	v_fmac_f16_e32 v29, 0xb8b4, v164
	v_fmac_f16_e32 v28, 0x34f2, v58
	;; [unrolled: 1-line block ×8, first 2 shown]
	v_add_f16_e32 v31, v31, v165
	v_add_f16_e32 v32, v32, v172
	v_fmac_f16_e32 v76, 0x34f2, v71
	v_fmac_f16_e32 v33, 0x34f2, v58
	;; [unrolled: 1-line block ×4, first 2 shown]
	v_pack_b32_f16 v28, v28, v39
	v_add_nc_u32_e32 v161, 0x1200, v79
	v_add_nc_u32_e32 v58, 0xe00, v79
	v_pack_b32_f16 v176, v29, v34
	v_pack_b32_f16 v29, v31, v32
	;; [unrolled: 1-line block ×6, first 2 shown]
	ds_read2_b32 v[73:74], v79 offset0:112 offset1:168
	ds_read2_b32 v[75:76], v68 offset0:192 offset1:248
	ds_write_b32 v79, v28 offset:3360
	v_lshlrev_b32_e32 v28, 4, v61
	ds_read2_b32 v[63:64], v69 offset0:160 offset1:216
	ds_read2_b32 v[65:66], v161 offset0:80 offset1:136
	;; [unrolled: 1-line block ×3, first 2 shown]
	ds_write_b32 v79, v31 offset:1120
	v_lshlrev_b32_e32 v31, 4, v60
	ds_write_b32 v79, v32 offset:2240
	ds_write_b32 v79, v33 offset:4480
	ds_read_b32 v61, v79 offset:5376
	ds_write2_b32 v79, v30, v29 offset1:56
	s_clause 0x1
	global_load_dwordx4 v[32:35], v28, s[2:3] offset:1112
	global_load_dwordx4 v[28:31], v31, s[2:3] offset:1112
	v_lshrrev_b32_e32 v39, 16, v38
	v_fmac_f16_e32 v174, 0x38b4, v164
	v_fmac_f16_e32 v175, 0xb8b4, v167
	;; [unrolled: 1-line block ×4, first 2 shown]
	s_waitcnt vmcnt(1)
	v_mul_f16_sdwa v178, v177, v34 dst_sel:DWORD dst_unused:UNUSED_PAD src0_sel:DWORD src1_sel:WORD_1
	v_mul_f16_sdwa v179, v36, v34 dst_sel:DWORD dst_unused:UNUSED_PAD src0_sel:DWORD src1_sel:WORD_1
	;; [unrolled: 1-line block ×3, first 2 shown]
	s_waitcnt vmcnt(0) lgkmcnt(5)
	v_mul_f16_sdwa v186, v71, v30 dst_sel:DWORD dst_unused:UNUSED_PAD src0_sel:DWORD src1_sel:WORD_1
	v_mul_f16_sdwa v187, v75, v28 dst_sel:DWORD dst_unused:UNUSED_PAD src0_sel:DWORD src1_sel:WORD_1
	v_fma_f16 v178, v36, v34, -v178
	v_sub_f16_e32 v36, v37, v77
	v_sub_f16_e32 v37, v165, v163
	v_sub_f16_e32 v77, v166, v168
	v_sub_f16_e32 v163, v172, v170
	v_mul_f16_sdwa v166, v65, v35 dst_sel:DWORD dst_unused:UNUSED_PAD src0_sel:DWORD src1_sel:WORD_1
	v_fma_f16 v60, v38, v32, -v60
	v_add_f16_e32 v165, v36, v37
	v_lshrrev_b32_e32 v36, 16, v63
	v_add_f16_e32 v77, v77, v163
	v_mul_f16_sdwa v163, v63, v33 dst_sel:DWORD dst_unused:UNUSED_PAD src0_sel:DWORD src1_sel:WORD_1
	v_lshrrev_b32_e32 v37, 16, v65
	v_mul_f16_sdwa v38, v38, v32 dst_sel:DWORD dst_unused:UNUSED_PAD src0_sel:DWORD src1_sel:WORD_1
	v_fmac_f16_e32 v179, v177, v34
	v_fmac_f16_e32 v163, v36, v33
	v_mul_f16_sdwa v36, v36, v33 dst_sel:DWORD dst_unused:UNUSED_PAD src0_sel:DWORD src1_sel:WORD_1
	v_fmac_f16_e32 v166, v37, v35
	v_mul_f16_sdwa v37, v37, v35 dst_sel:DWORD dst_unused:UNUSED_PAD src0_sel:DWORD src1_sel:WORD_1
	v_fmac_f16_e32 v38, v39, v32
	v_add_f16_e32 v39, v163, v179
	v_fma_f16 v63, v63, v33, -v36
	v_sub_f16_e32 v181, v163, v179
	v_fma_f16 v65, v65, v35, -v37
	v_sub_f16_e32 v180, v38, v166
	v_sub_f16_e32 v36, v60, v63
	;; [unrolled: 1-line block ×5, first 2 shown]
	v_add_f16_e32 v168, v36, v37
	v_sub_f16_e32 v36, v38, v163
	v_sub_f16_e32 v37, v166, v179
	v_add_f16_e32 v170, v36, v37
	v_fmamk_f16 v36, v164, 0x3b9c, v56
	v_fmamk_f16 v37, v167, 0xbb9c, v171
	v_fmac_f16_e32 v171, 0x3b9c, v167
	v_fmac_f16_e32 v56, 0xbb9c, v164
	;; [unrolled: 1-line block ×10, first 2 shown]
	v_pack_b32_f16 v36, v36, v37
	v_add_f16_e32 v37, v63, v178
	v_pack_b32_f16 v56, v56, v171
	v_fma_f16 v172, -0.5, v37, v73
	v_lshrrev_b32_e32 v37, 16, v73
	v_fma_f16 v177, -0.5, v39, v37
	v_fmamk_f16 v39, v180, 0x3b9c, v172
	v_add_f16_e32 v200, v37, v38
	v_fmac_f16_e32 v172, 0xbb9c, v180
	v_fmamk_f16 v184, v182, 0xbb9c, v177
	v_fmac_f16_e32 v39, 0x38b4, v181
	v_fmac_f16_e32 v177, 0x3b9c, v182
	;; [unrolled: 1-line block ×9, first 2 shown]
	v_pack_b32_f16 v39, v39, v184
	ds_write2_b32 v68, v36, v39 offset0:80 offset1:136
	v_lshrrev_b32_e32 v36, 16, v64
	v_mul_f16_sdwa v39, v36, v29 dst_sel:DWORD dst_unused:UNUSED_PAD src0_sel:DWORD src1_sel:WORD_1
	v_fma_f16 v184, v64, v29, -v39
	v_lshrrev_b32_e32 v39, 16, v66
	v_mul_f16_sdwa v64, v64, v29 dst_sel:DWORD dst_unused:UNUSED_PAD src0_sel:DWORD src1_sel:WORD_1
	v_mul_f16_sdwa v185, v39, v31 dst_sel:DWORD dst_unused:UNUSED_PAD src0_sel:DWORD src1_sel:WORD_1
	v_fmac_f16_e32 v64, v36, v29
	v_lshrrev_b32_e32 v36, 16, v71
	v_fma_f16 v185, v66, v31, -v185
	v_mul_f16_sdwa v66, v66, v31 dst_sel:DWORD dst_unused:UNUSED_PAD src0_sel:DWORD src1_sel:WORD_1
	v_fmac_f16_e32 v186, v36, v30
	v_mul_f16_sdwa v36, v36, v30 dst_sel:DWORD dst_unused:UNUSED_PAD src0_sel:DWORD src1_sel:WORD_1
	v_fmac_f16_e32 v66, v39, v31
	v_lshrrev_b32_e32 v39, 16, v75
	v_fma_f16 v71, v71, v30, -v36
	v_sub_f16_e32 v194, v64, v186
	v_sub_f16_e32 v193, v186, v66
	v_fmac_f16_e32 v187, v39, v28
	v_mul_f16_sdwa v39, v39, v28 dst_sel:DWORD dst_unused:UNUSED_PAD src0_sel:DWORD src1_sel:WORD_1
	v_add_f16_e32 v36, v184, v71
	v_sub_f16_e32 v190, v71, v185
	v_sub_f16_e32 v196, v184, v71
	;; [unrolled: 1-line block ×3, first 2 shown]
	v_fma_f16 v75, v75, v28, -v39
	v_fma_f16 v188, -0.5, v36, v74
	v_lshrrev_b32_e32 v39, 16, v74
	v_sub_f16_e32 v77, v66, v186
	v_add_f16_e32 v36, v75, v185
	v_add_f16_e32 v189, v74, v75
	;; [unrolled: 1-line block ×3, first 2 shown]
	v_sub_f16_e32 v199, v75, v185
	v_fmac_f16_e32 v74, -0.5, v36
	v_sub_f16_e32 v36, v184, v75
	v_fmamk_f16 v195, v194, 0xbb9c, v74
	v_add_f16_e32 v190, v36, v190
	v_add_f16_e32 v36, v64, v186
	v_fmac_f16_e32 v74, 0x3b9c, v194
	v_fmac_f16_e32 v195, 0x38b4, v198
	v_fma_f16 v191, -0.5, v36, v39
	v_add_f16_e32 v36, v187, v66
	v_fmac_f16_e32 v74, 0xb8b4, v198
	v_fmac_f16_e32 v195, 0x34f2, v190
	v_fmac_f16_e32 v39, -0.5, v36
	v_sub_f16_e32 v36, v64, v187
	v_fmac_f16_e32 v74, 0x34f2, v190
	v_fmamk_f16 v197, v196, 0x3b9c, v39
	v_fmac_f16_e32 v39, 0xbb9c, v196
	v_add_f16_e32 v193, v36, v193
	v_add_f16_e32 v36, v60, v65
	v_fmac_f16_e32 v197, 0xb8b4, v199
	v_fmac_f16_e32 v39, 0x38b4, v199
	v_fma_f16 v36, -0.5, v36, v73
	v_add_f16_e32 v73, v73, v60
	v_fmac_f16_e32 v197, 0x34f2, v193
	v_fmac_f16_e32 v39, 0x34f2, v193
	v_fmamk_f16 v169, v181, 0xbb9c, v36
	v_fmac_f16_e32 v36, 0x3b9c, v181
	v_pack_b32_f16 v74, v74, v39
	v_sub_f16_e32 v39, v63, v60
	v_sub_f16_e32 v60, v178, v65
	v_fmac_f16_e32 v36, 0xb8b4, v180
	v_fmac_f16_e32 v169, 0x38b4, v180
	v_add_f16_e32 v39, v39, v60
	v_add_f16_e32 v60, v38, v166
	v_sub_f16_e32 v38, v163, v38
	v_fmac_f16_e32 v36, 0x34f2, v39
	v_fmac_f16_e32 v37, -0.5, v60
	v_sub_f16_e32 v60, v179, v166
	v_fmac_f16_e32 v169, 0x34f2, v39
	v_fmamk_f16 v173, v183, 0x3b9c, v37
	v_fmac_f16_e32 v37, 0xbb9c, v183
	v_add_f16_e32 v38, v38, v60
	v_pack_b32_f16 v60, v174, v175
	v_lshrrev_b32_e32 v174, 16, v72
	v_fmac_f16_e32 v173, 0xb8b4, v182
	v_fmac_f16_e32 v37, 0x38b4, v182
	;; [unrolled: 1-line block ×4, first 2 shown]
	v_pack_b32_f16 v169, v169, v173
	v_pack_b32_f16 v36, v36, v37
	ds_write2_b32 v69, v60, v169 offset0:104 offset1:160
	ds_write2_b32 v70, v176, v36 offset0:128 offset1:184
	v_lshlrev_b32_e32 v36, 4, v59
	v_lshrrev_b32_e32 v59, 16, v76
	v_lshrrev_b32_e32 v169, 16, v57
	global_load_dwordx4 v[36:39], v36, s[2:3] offset:1112
	s_waitcnt vmcnt(0)
	v_mul_f16_sdwa v60, v59, v36 dst_sel:DWORD dst_unused:UNUSED_PAD src0_sel:DWORD src1_sel:WORD_1
	v_mul_f16_sdwa v173, v169, v37 dst_sel:DWORD dst_unused:UNUSED_PAD src0_sel:DWORD src1_sel:WORD_1
	;; [unrolled: 1-line block ×3, first 2 shown]
	v_fma_f16 v60, v76, v36, -v60
	v_mul_f16_sdwa v76, v76, v36 dst_sel:DWORD dst_unused:UNUSED_PAD src0_sel:DWORD src1_sel:WORD_1
	v_fma_f16 v173, v57, v37, -v173
	v_mul_f16_sdwa v57, v57, v37 dst_sel:DWORD dst_unused:UNUSED_PAD src0_sel:DWORD src1_sel:WORD_1
	;; [unrolled: 2-line block ×3, first 2 shown]
	v_fmac_f16_e32 v76, v59, v36
	s_waitcnt lgkmcnt(4)
	v_lshrrev_b32_e32 v59, 16, v61
	v_fmac_f16_e32 v57, v169, v37
	v_add_f16_e32 v78, v173, v175
	v_fmac_f16_e32 v72, v174, v38
	v_mul_f16_sdwa v169, v59, v39 dst_sel:DWORD dst_unused:UNUSED_PAD src0_sel:DWORD src1_sel:WORD_1
	v_fma_f16 v162, -0.5, v78, v55
	v_add_f16_e32 v78, v55, v60
	v_fma_f16 v169, v61, v39, -v169
	v_mul_f16_sdwa v61, v61, v39 dst_sel:DWORD dst_unused:UNUSED_PAD src0_sel:DWORD src1_sel:WORD_1
	v_fmac_f16_e32 v61, v59, v39
	v_add_f16_e32 v59, v73, v63
	v_sub_f16_e32 v73, v75, v184
	v_add_f16_e32 v75, v189, v184
	v_add_f16_e32 v63, v200, v163
	v_sub_f16_e32 v163, v185, v71
	v_add_f16_e32 v59, v59, v178
	v_add_f16_e32 v71, v75, v71
	;; [unrolled: 1-line block ×3, first 2 shown]
	v_sub_f16_e32 v64, v187, v64
	v_add_f16_e32 v59, v59, v65
	v_add_f16_e32 v73, v73, v163
	v_add_f16_e32 v65, v71, v185
	v_fmamk_f16 v71, v198, 0x3b9c, v188
	v_fmac_f16_e32 v188, 0xbb9c, v198
	v_add_f16_e32 v64, v64, v77
	v_fmamk_f16 v77, v199, 0xbb9c, v191
	v_fmac_f16_e32 v191, 0x3b9c, v199
	v_fmac_f16_e32 v71, 0x38b4, v194
	;; [unrolled: 1-line block ×3, first 2 shown]
	v_add_f16_e32 v75, v75, v186
	v_fmac_f16_e32 v77, 0xb8b4, v196
	v_fmac_f16_e32 v191, 0x38b4, v196
	;; [unrolled: 1-line block ×4, first 2 shown]
	v_add_f16_e32 v66, v75, v66
	v_fmac_f16_e32 v77, 0x34f2, v64
	v_sub_f16_e32 v73, v60, v173
	v_sub_f16_e32 v75, v169, v175
	v_fmac_f16_e32 v191, 0x34f2, v64
	v_add_f16_e32 v64, v60, v169
	v_add_f16_e32 v63, v63, v179
	v_sub_f16_e32 v163, v57, v72
	v_add_f16_e32 v73, v73, v75
	v_lshrrev_b32_e32 v75, 16, v55
	v_fmac_f16_e32 v55, -0.5, v64
	v_sub_f16_e32 v64, v76, v61
	v_add_f16_e32 v63, v63, v166
	v_sub_f16_e32 v166, v175, v169
	v_add_f16_e32 v167, v75, v76
	v_fmamk_f16 v165, v163, 0xbb9c, v55
	v_fmamk_f16 v164, v64, 0x3b9c, v162
	v_fmac_f16_e32 v162, 0xbb9c, v64
	v_fmac_f16_e32 v55, 0x3b9c, v163
	v_pack_b32_f16 v65, v65, v66
	v_fmac_f16_e32 v165, 0x38b4, v64
	v_fmac_f16_e32 v164, 0x38b4, v163
	;; [unrolled: 1-line block ×3, first 2 shown]
	v_sub_f16_e32 v163, v173, v60
	v_fmac_f16_e32 v55, 0xb8b4, v64
	v_add_f16_e32 v64, v78, v173
	v_sub_f16_e32 v78, v76, v57
	v_sub_f16_e32 v60, v60, v169
	v_add_f16_e32 v163, v163, v166
	v_add_f16_e32 v166, v57, v72
	v_fmac_f16_e32 v164, 0x34f2, v73
	v_fmac_f16_e32 v162, 0x34f2, v73
	v_sub_f16_e32 v73, v173, v175
	v_fmac_f16_e32 v165, 0x34f2, v163
	v_fmac_f16_e32 v55, 0x34f2, v163
	v_sub_f16_e32 v163, v61, v72
	v_add_f16_e32 v64, v64, v175
	v_pack_b32_f16 v66, v195, v197
	v_add_f16_e32 v78, v78, v163
	v_fma_f16 v163, -0.5, v166, v75
	v_add_f16_e32 v166, v76, v61
	v_add_f16_e32 v64, v64, v169
	v_fmac_f16_e32 v75, -0.5, v166
	v_add_f16_e32 v166, v167, v57
	v_sub_f16_e32 v57, v57, v76
	v_add_f16_e32 v76, v166, v72
	v_fmamk_f16 v166, v60, 0xbb9c, v163
	v_fmac_f16_e32 v163, 0x3b9c, v60
	v_add_f16_e32 v76, v76, v61
	v_sub_f16_e32 v61, v72, v61
	v_fmamk_f16 v72, v73, 0x3b9c, v75
	v_fmac_f16_e32 v75, 0xbb9c, v73
	v_fmac_f16_e32 v166, 0xb8b4, v73
	;; [unrolled: 1-line block ×3, first 2 shown]
	v_add_f16_e32 v61, v57, v61
	v_fmac_f16_e32 v72, 0xb8b4, v60
	v_fmac_f16_e32 v75, 0x38b4, v60
	v_pack_b32_f16 v60, v59, v63
	v_lshlrev_b32_e32 v57, 2, v101
	v_pack_b32_f16 v63, v172, v177
	v_fmac_f16_e32 v166, 0x34f2, v78
	v_fmac_f16_e32 v72, 0x34f2, v61
	;; [unrolled: 1-line block ×3, first 2 shown]
	v_add_co_u32 v57, s1, s12, v57
	ds_write2_b32 v67, v56, v63 offset0:152 offset1:208
	ds_write2_b32 v79, v60, v65 offset0:112 offset1:168
	v_pack_b32_f16 v60, v188, v191
	v_pack_b32_f16 v61, v64, v76
	v_fmac_f16_e32 v163, 0x34f2, v78
	v_add_co_ci_u32_e64 v59, null, s13, 0, s1
	v_pack_b32_f16 v56, v71, v77
	v_pack_b32_f16 v63, v164, v166
	;; [unrolled: 1-line block ×4, first 2 shown]
	ds_write_b32 v79, v66 offset:2912
	ds_write_b32 v79, v74 offset:4032
	;; [unrolled: 1-line block ×4, first 2 shown]
	ds_write2_b32 v68, v56, v63 offset0:192 offset1:248
	ds_write_b32 v79, v64 offset:3136
	ds_write_b32 v79, v55 offset:4256
	v_add_co_u32 v55, s1, 0x1000, v57
	v_pack_b32_f16 v60, v162, v163
	v_add_co_ci_u32_e64 v56, s1, 0, v59, s1
	ds_write_b32 v79, v60 offset:5376
	s_waitcnt lgkmcnt(0)
	s_barrier
	buffer_gl0_inv
	global_load_dword v65, v[55:56], off offset:1504
	v_add_co_u32 v55, s1, 0x15e0, v57
	v_add_co_ci_u32_e64 v56, s1, 0, v59, s1
	v_add_co_u32 v60, s1, 0x2000, v57
	v_add_co_ci_u32_e64 v61, s1, 0, v59, s1
	s_clause 0xc
	global_load_dword v71, v[55:56], off offset:224
	global_load_dword v72, v[60:61], off offset:432
	;; [unrolled: 1-line block ×13, first 2 shown]
	ds_read2_b32 v[63:64], v79 offset1:56
	global_load_dword v169, v[55:56], off offset:2016
	s_waitcnt lgkmcnt(0)
	v_lshrrev_b32_e32 v66, 16, v63
	s_waitcnt vmcnt(14)
	v_mul_f16_sdwa v170, v66, v65 dst_sel:DWORD dst_unused:UNUSED_PAD src0_sel:DWORD src1_sel:WORD_1
	v_mul_f16_sdwa v171, v63, v65 dst_sel:DWORD dst_unused:UNUSED_PAD src0_sel:DWORD src1_sel:WORD_1
	v_fma_f16 v63, v63, v65, -v170
	global_load_dword v170, v[55:56], off offset:1792
	v_fmac_f16_e32 v171, v66, v65
	s_waitcnt vmcnt(14)
	v_mul_f16_sdwa v172, v64, v71 dst_sel:DWORD dst_unused:UNUSED_PAD src0_sel:DWORD src1_sel:WORD_1
	v_pack_b32_f16 v63, v63, v171
	ds_write_b32 v79, v63
	ds_read2_b32 v[65:66], v69 offset0:188 offset1:244
	v_lshrrev_b32_e32 v63, 16, v64
	v_mul_f16_sdwa v171, v63, v71 dst_sel:DWORD dst_unused:UNUSED_PAD src0_sel:DWORD src1_sel:WORD_1
	v_fmac_f16_e32 v172, v63, v71
	v_fma_f16 v171, v64, v71, -v171
	ds_read2_b32 v[63:64], v79 offset0:112 offset1:168
	s_waitcnt lgkmcnt(1)
	v_lshrrev_b32_e32 v71, 16, v66
	s_waitcnt vmcnt(13)
	v_mul_f16_sdwa v173, v66, v72 dst_sel:DWORD dst_unused:UNUSED_PAD src0_sel:DWORD src1_sel:WORD_1
	v_mul_f16_sdwa v174, v71, v72 dst_sel:DWORD dst_unused:UNUSED_PAD src0_sel:DWORD src1_sel:WORD_1
	v_fmac_f16_e32 v173, v71, v72
	v_lshrrev_b32_e32 v71, 16, v65
	v_fma_f16 v66, v66, v72, -v174
	s_waitcnt vmcnt(8)
	v_mul_f16_sdwa v72, v71, v77 dst_sel:DWORD dst_unused:UNUSED_PAD src0_sel:DWORD src1_sel:WORD_1
	s_waitcnt lgkmcnt(0)
	v_lshrrev_b32_e32 v174, 16, v63
	v_pack_b32_f16 v66, v66, v173
	v_fma_f16 v72, v65, v77, -v72
	v_mul_f16_sdwa v65, v65, v77 dst_sel:DWORD dst_unused:UNUSED_PAD src0_sel:DWORD src1_sel:WORD_1
	v_fmac_f16_e32 v65, v71, v77
	s_waitcnt vmcnt(7)
	v_mul_f16_sdwa v71, v63, v78 dst_sel:DWORD dst_unused:UNUSED_PAD src0_sel:DWORD src1_sel:WORD_1
	v_mul_f16_sdwa v77, v174, v78 dst_sel:DWORD dst_unused:UNUSED_PAD src0_sel:DWORD src1_sel:WORD_1
	v_pack_b32_f16 v65, v72, v65
	v_fmac_f16_e32 v71, v174, v78
	v_lshrrev_b32_e32 v174, 16, v64
	v_fma_f16 v77, v63, v78, -v77
	s_waitcnt vmcnt(6)
	v_mul_f16_sdwa v78, v64, v164 dst_sel:DWORD dst_unused:UNUSED_PAD src0_sel:DWORD src1_sel:WORD_1
	v_mul_f16_sdwa v63, v174, v164 dst_sel:DWORD dst_unused:UNUSED_PAD src0_sel:DWORD src1_sel:WORD_1
	v_pack_b32_f16 v71, v77, v71
	v_fmac_f16_e32 v78, v174, v164
	v_fma_f16 v164, v64, v164, -v63
	ds_read2_b32 v[63:64], v70 offset0:44 offset1:100
	v_pack_b32_f16 v72, v164, v78
	s_waitcnt lgkmcnt(0)
	v_lshrrev_b32_e32 v174, 16, v63
	v_mul_f16_sdwa v175, v63, v73 dst_sel:DWORD dst_unused:UNUSED_PAD src0_sel:DWORD src1_sel:WORD_1
	v_mul_f16_sdwa v176, v64, v74 dst_sel:DWORD dst_unused:UNUSED_PAD src0_sel:DWORD src1_sel:WORD_1
	v_fmac_f16_e32 v175, v174, v73
	v_mul_f16_sdwa v174, v174, v73 dst_sel:DWORD dst_unused:UNUSED_PAD src0_sel:DWORD src1_sel:WORD_1
	v_fma_f16 v73, v63, v73, -v174
	v_lshrrev_b32_e32 v63, 16, v64
	v_pack_b32_f16 v73, v73, v175
	v_mul_f16_sdwa v174, v63, v74 dst_sel:DWORD dst_unused:UNUSED_PAD src0_sel:DWORD src1_sel:WORD_1
	v_fmac_f16_e32 v176, v63, v74
	v_fma_f16 v174, v64, v74, -v174
	ds_read2_b32 v[63:64], v62 offset0:96 offset1:152
	v_pack_b32_f16 v77, v174, v176
	s_waitcnt lgkmcnt(0)
	v_lshrrev_b32_e32 v74, 16, v63
	s_waitcnt vmcnt(5)
	v_mul_f16_sdwa v177, v63, v165 dst_sel:DWORD dst_unused:UNUSED_PAD src0_sel:DWORD src1_sel:WORD_1
	s_waitcnt vmcnt(4)
	v_mul_f16_sdwa v178, v64, v166 dst_sel:DWORD dst_unused:UNUSED_PAD src0_sel:DWORD src1_sel:WORD_1
	v_fmac_f16_e32 v177, v74, v165
	v_mul_f16_sdwa v74, v74, v165 dst_sel:DWORD dst_unused:UNUSED_PAD src0_sel:DWORD src1_sel:WORD_1
	v_fma_f16 v74, v63, v165, -v74
	v_lshrrev_b32_e32 v63, 16, v64
	v_pack_b32_f16 v74, v74, v177
	v_mul_f16_sdwa v165, v63, v166 dst_sel:DWORD dst_unused:UNUSED_PAD src0_sel:DWORD src1_sel:WORD_1
	v_fmac_f16_e32 v178, v63, v166
	v_fma_f16 v165, v64, v166, -v165
	ds_read2_b32 v[63:64], v70 offset0:156 offset1:212
	v_pack_b32_f16 v78, v165, v178
	s_waitcnt lgkmcnt(0)
	v_lshrrev_b32_e32 v166, 16, v63
	v_mul_f16_sdwa v179, v63, v75 dst_sel:DWORD dst_unused:UNUSED_PAD src0_sel:DWORD src1_sel:WORD_1
	v_mul_f16_sdwa v180, v64, v76 dst_sel:DWORD dst_unused:UNUSED_PAD src0_sel:DWORD src1_sel:WORD_1
	v_fmac_f16_e32 v179, v166, v75
	v_mul_f16_sdwa v166, v166, v75 dst_sel:DWORD dst_unused:UNUSED_PAD src0_sel:DWORD src1_sel:WORD_1
	v_fma_f16 v75, v63, v75, -v166
	v_lshrrev_b32_e32 v63, 16, v64
	v_pack_b32_f16 v75, v75, v179
	v_mul_f16_sdwa v166, v63, v76 dst_sel:DWORD dst_unused:UNUSED_PAD src0_sel:DWORD src1_sel:WORD_1
	v_fmac_f16_e32 v180, v63, v76
	v_fma_f16 v166, v64, v76, -v166
	ds_read2_b32 v[63:64], v68 offset0:80 offset1:136
	v_pack_b32_f16 v164, v166, v180
	s_waitcnt lgkmcnt(0)
	v_lshrrev_b32_e32 v76, 16, v63
	s_waitcnt vmcnt(3)
	v_mul_f16_sdwa v181, v63, v167 dst_sel:DWORD dst_unused:UNUSED_PAD src0_sel:DWORD src1_sel:WORD_1
	s_waitcnt vmcnt(2)
	v_mul_f16_sdwa v182, v64, v168 dst_sel:DWORD dst_unused:UNUSED_PAD src0_sel:DWORD src1_sel:WORD_1
	v_fmac_f16_e32 v181, v76, v167
	v_mul_f16_sdwa v76, v76, v167 dst_sel:DWORD dst_unused:UNUSED_PAD src0_sel:DWORD src1_sel:WORD_1
	v_fma_f16 v76, v63, v167, -v76
	v_lshrrev_b32_e32 v63, 16, v64
	v_pack_b32_f16 v76, v76, v181
	v_mul_f16_sdwa v167, v63, v168 dst_sel:DWORD dst_unused:UNUSED_PAD src0_sel:DWORD src1_sel:WORD_1
	v_fmac_f16_e32 v182, v63, v168
	v_fma_f16 v167, v64, v168, -v167
	s_clause 0x2
	global_load_dword v168, v[60:61], off offset:1552
	global_load_dword v183, v[60:61], off offset:1776
	;; [unrolled: 1-line block ×3, first 2 shown]
	v_add_co_u32 v60, s1, 0x2800, v57
	v_add_co_ci_u32_e64 v61, s1, 0, v59, s1
	v_add_co_u32 v63, s1, 0x1800, v57
	v_add_co_ci_u32_e64 v64, s1, 0, v59, s1
	s_clause 0x3
	global_load_dword v57, v[60:61], off offset:176
	global_load_dword v185, v[63:64], off offset:1920
	;; [unrolled: 1-line block ×4, first 2 shown]
	ds_read2_b32 v[59:60], v67 offset0:12 offset1:68
	v_pack_b32_f16 v166, v167, v182
	s_waitcnt lgkmcnt(0)
	v_lshrrev_b32_e32 v187, 16, v59
	s_waitcnt vmcnt(6)
	v_mul_f16_sdwa v188, v59, v168 dst_sel:DWORD dst_unused:UNUSED_PAD src0_sel:DWORD src1_sel:WORD_1
	s_waitcnt vmcnt(5)
	v_mul_f16_sdwa v189, v60, v183 dst_sel:DWORD dst_unused:UNUSED_PAD src0_sel:DWORD src1_sel:WORD_1
	v_fmac_f16_e32 v188, v187, v168
	v_mul_f16_sdwa v187, v187, v168 dst_sel:DWORD dst_unused:UNUSED_PAD src0_sel:DWORD src1_sel:WORD_1
	v_fma_f16 v168, v59, v168, -v187
	v_lshrrev_b32_e32 v59, 16, v60
	v_pack_b32_f16 v165, v168, v188
	v_mul_f16_sdwa v187, v59, v183 dst_sel:DWORD dst_unused:UNUSED_PAD src0_sel:DWORD src1_sel:WORD_1
	v_fmac_f16_e32 v189, v59, v183
	v_fma_f16 v187, v60, v183, -v187
	ds_read2_b32 v[59:60], v68 offset0:192 offset1:248
	v_pack_b32_f16 v167, v187, v189
	s_waitcnt lgkmcnt(0)
	v_lshrrev_b32_e32 v183, 16, v59
	v_mul_f16_sdwa v190, v59, v170 dst_sel:DWORD dst_unused:UNUSED_PAD src0_sel:DWORD src1_sel:WORD_1
	v_mul_f16_sdwa v191, v60, v169 dst_sel:DWORD dst_unused:UNUSED_PAD src0_sel:DWORD src1_sel:WORD_1
	v_fmac_f16_e32 v190, v183, v170
	v_mul_f16_sdwa v183, v183, v170 dst_sel:DWORD dst_unused:UNUSED_PAD src0_sel:DWORD src1_sel:WORD_1
	v_fma_f16 v170, v59, v170, -v183
	v_lshrrev_b32_e32 v59, 16, v60
	v_pack_b32_f16 v168, v170, v190
	v_mul_f16_sdwa v183, v59, v169 dst_sel:DWORD dst_unused:UNUSED_PAD src0_sel:DWORD src1_sel:WORD_1
	v_fmac_f16_e32 v191, v59, v169
	v_fma_f16 v183, v60, v169, -v183
	ds_read2_b32 v[59:60], v67 offset0:124 offset1:180
	v_pack_b32_f16 v170, v183, v191
	s_waitcnt lgkmcnt(0)
	v_lshrrev_b32_e32 v169, 16, v59
	s_waitcnt vmcnt(4)
	v_mul_f16_sdwa v192, v59, v184 dst_sel:DWORD dst_unused:UNUSED_PAD src0_sel:DWORD src1_sel:WORD_1
	s_waitcnt vmcnt(3)
	v_mul_f16_sdwa v193, v60, v57 dst_sel:DWORD dst_unused:UNUSED_PAD src0_sel:DWORD src1_sel:WORD_1
	v_fmac_f16_e32 v192, v169, v184
	v_mul_f16_sdwa v169, v169, v184 dst_sel:DWORD dst_unused:UNUSED_PAD src0_sel:DWORD src1_sel:WORD_1
	v_fma_f16 v169, v59, v184, -v169
	v_lshrrev_b32_e32 v59, 16, v60
	v_pack_b32_f16 v169, v169, v192
	v_mul_f16_sdwa v184, v59, v57 dst_sel:DWORD dst_unused:UNUSED_PAD src0_sel:DWORD src1_sel:WORD_1
	v_fmac_f16_e32 v193, v59, v57
	v_fma_f16 v184, v60, v57, -v184
	global_load_dword v57, v[63:64], off offset:1696
	ds_read2_b32 v[59:60], v69 offset0:48 offset1:104
	s_waitcnt lgkmcnt(0)
	v_lshrrev_b32_e32 v63, 16, v59
	s_waitcnt vmcnt(3)
	v_mul_f16_sdwa v194, v60, v185 dst_sel:DWORD dst_unused:UNUSED_PAD src0_sel:DWORD src1_sel:WORD_1
	s_waitcnt vmcnt(0)
	v_mul_f16_sdwa v64, v59, v57 dst_sel:DWORD dst_unused:UNUSED_PAD src0_sel:DWORD src1_sel:WORD_1
	v_fmac_f16_e32 v64, v63, v57
	v_mul_f16_sdwa v63, v63, v57 dst_sel:DWORD dst_unused:UNUSED_PAD src0_sel:DWORD src1_sel:WORD_1
	v_fma_f16 v57, v59, v57, -v63
	v_lshrrev_b32_e32 v59, 16, v60
	v_pack_b32_f16 v57, v57, v64
	v_mul_f16_sdwa v63, v59, v185 dst_sel:DWORD dst_unused:UNUSED_PAD src0_sel:DWORD src1_sel:WORD_1
	v_fmac_f16_e32 v194, v59, v185
	v_add_nc_u32_e32 v64, 0xa00, v79
	v_fma_f16 v63, v60, v185, -v63
	ds_read2_b32 v[59:60], v161 offset0:108 offset1:164
	v_pack_b32_f16 v63, v63, v194
	s_waitcnt lgkmcnt(0)
	v_lshrrev_b32_e32 v185, 16, v59
	v_mul_f16_sdwa v195, v59, v186 dst_sel:DWORD dst_unused:UNUSED_PAD src0_sel:DWORD src1_sel:WORD_1
	v_fmac_f16_e32 v195, v185, v186
	v_mul_f16_sdwa v185, v185, v186 dst_sel:DWORD dst_unused:UNUSED_PAD src0_sel:DWORD src1_sel:WORD_1
	v_fma_f16 v59, v59, v186, -v185
	v_lshrrev_b32_e32 v185, 16, v60
	v_pack_b32_f16 v59, v59, v195
	v_mul_f16_sdwa v186, v185, v61 dst_sel:DWORD dst_unused:UNUSED_PAD src0_sel:DWORD src1_sel:WORD_1
	v_fma_f16 v186, v60, v61, -v186
	v_mul_f16_sdwa v60, v60, v61 dst_sel:DWORD dst_unused:UNUSED_PAD src0_sel:DWORD src1_sel:WORD_1
	v_fmac_f16_e32 v60, v185, v61
	v_pack_b32_f16 v61, v171, v172
	v_pack_b32_f16 v171, v184, v193
	v_add_nc_u32_e32 v172, 0x600, v79
	v_pack_b32_f16 v60, v186, v60
	ds_write2_b32 v64, v66, v73 offset0:116 offset1:172
	ds_write2_b32 v79, v61, v71 offset0:56 offset1:112
	;; [unrolled: 1-line block ×11, first 2 shown]
	ds_write_b32 v79, v60 offset:5264
	s_and_saveexec_b32 s2, vcc_lo
	s_cbranch_execz .LBB0_21
; %bb.20:
	v_add_co_u32 v57, s1, 0x800, v55
	v_add_co_ci_u32_e64 v58, s1, 0, v56, s1
	v_add_co_u32 v55, s1, 0x1000, v55
	v_add_co_ci_u32_e64 v56, s1, 0, v56, s1
	s_clause 0x1
	global_load_dword v57, v[57:58], off offset:640
	global_load_dword v55, v[55:56], off offset:1392
	ds_read_b32 v56, v79 offset:2688
	ds_read_b32 v58, v79 offset:5488
	s_waitcnt lgkmcnt(1)
	v_lshrrev_b32_e32 v59, 16, v56
	s_waitcnt lgkmcnt(0)
	v_lshrrev_b32_e32 v60, 16, v58
	s_waitcnt vmcnt(1)
	v_mul_f16_sdwa v61, v59, v57 dst_sel:DWORD dst_unused:UNUSED_PAD src0_sel:DWORD src1_sel:WORD_1
	v_mul_f16_sdwa v63, v56, v57 dst_sel:DWORD dst_unused:UNUSED_PAD src0_sel:DWORD src1_sel:WORD_1
	s_waitcnt vmcnt(0)
	v_mul_f16_sdwa v64, v60, v55 dst_sel:DWORD dst_unused:UNUSED_PAD src0_sel:DWORD src1_sel:WORD_1
	v_mul_f16_sdwa v65, v58, v55 dst_sel:DWORD dst_unused:UNUSED_PAD src0_sel:DWORD src1_sel:WORD_1
	v_fma_f16 v56, v56, v57, -v61
	v_fmac_f16_e32 v63, v59, v57
	v_fma_f16 v57, v58, v55, -v64
	v_fmac_f16_e32 v65, v60, v55
	v_pack_b32_f16 v55, v56, v63
	v_pack_b32_f16 v56, v57, v65
	ds_write_b32 v79, v55 offset:2688
	ds_write_b32 v79, v56 offset:5488
.LBB0_21:
	s_or_b32 exec_lo, exec_lo, s2
	s_waitcnt lgkmcnt(0)
	s_barrier
	buffer_gl0_inv
	ds_read2_b32 v[65:66], v79 offset1:56
	ds_read2_b32 v[71:72], v69 offset0:188 offset1:244
	ds_read2_b32 v[63:64], v79 offset0:112 offset1:168
	;; [unrolled: 1-line block ×11, first 2 shown]
	v_lshlrev_b32_e32 v166, 2, v131
	v_lshlrev_b32_e32 v165, 2, v132
	;; [unrolled: 1-line block ×6, first 2 shown]
	s_and_saveexec_b32 s1, vcc_lo
	s_cbranch_execz .LBB0_23
; %bb.22:
	ds_read_b32 v162, v79 offset:2688
	ds_read_b32 v53, v79 offset:5488
	s_waitcnt lgkmcnt(1)
	v_lshrrev_b32_e32 v163, 16, v162
	s_waitcnt lgkmcnt(0)
	v_lshrrev_b32_e32 v160, 16, v53
.LBB0_23:
	s_or_b32 exec_lo, exec_lo, s1
	s_waitcnt lgkmcnt(10)
	v_pk_add_f16 v71, v65, v71 neg_lo:[0,1] neg_hi:[0,1]
	v_pk_add_f16 v168, v66, v72 neg_lo:[0,1] neg_hi:[0,1]
	s_waitcnt lgkmcnt(8)
	v_pk_add_f16 v72, v63, v73 neg_lo:[0,1] neg_hi:[0,1]
	s_waitcnt lgkmcnt(0)
	v_pk_add_f16 v174, v56, v70 neg_lo:[0,1] neg_hi:[0,1]
	v_pk_add_f16 v74, v64, v74 neg_lo:[0,1] neg_hi:[0,1]
	v_pk_fma_f16 v70, v65, 2.0, v71 op_sel_hi:[1,0,1] neg_lo:[0,0,1] neg_hi:[0,0,1]
	v_pk_fma_f16 v167, v66, 2.0, v168 op_sel_hi:[1,0,1] neg_lo:[0,0,1] neg_hi:[0,0,1]
	v_pk_add_f16 v169, v61, v75 neg_lo:[0,1] neg_hi:[0,1]
	v_pk_add_f16 v76, v62, v76 neg_lo:[0,1] neg_hi:[0,1]
	;; [unrolled: 1-line block ×4, first 2 shown]
	v_sub_f16_e32 v132, v162, v53
	v_sub_f16_e32 v133, v163, v160
	s_barrier
	buffer_gl0_inv
	ds_write_b64 v112, v[70:71]
	ds_write_b64 v114, v[167:168]
	v_pk_fma_f16 v71, v63, 2.0, v72 op_sel_hi:[1,0,1] neg_lo:[0,0,1] neg_hi:[0,0,1]
	v_pk_add_f16 v67, v57, v67 neg_lo:[0,1] neg_hi:[0,1]
	v_pk_fma_f16 v73, v64, 2.0, v74 op_sel_hi:[1,0,1] neg_lo:[0,0,1] neg_hi:[0,0,1]
	v_pk_add_f16 v172, v58, v68 neg_lo:[0,1] neg_hi:[0,1]
	;; [unrolled: 2-line block ×3, first 2 shown]
	v_pk_fma_f16 v75, v62, 2.0, v76 op_sel_hi:[1,0,1] neg_lo:[0,0,1] neg_hi:[0,0,1]
	v_pk_fma_f16 v170, v59, 2.0, v171 op_sel_hi:[1,0,1] neg_lo:[0,0,1] neg_hi:[0,0,1]
	v_fma_f16 v53, v162, 2.0, -v132
	v_fma_f16 v131, v163, 2.0, -v133
	ds_write_b64 v111, v[71:72]
	ds_write_b64 v113, v[73:74]
	;; [unrolled: 1-line block ×5, first 2 shown]
	v_pk_fma_f16 v76, v60, 2.0, v77 op_sel_hi:[1,0,1] neg_lo:[0,0,1] neg_hi:[0,0,1]
	v_pk_fma_f16 v66, v57, 2.0, v67 op_sel_hi:[1,0,1] neg_lo:[0,0,1] neg_hi:[0,0,1]
	;; [unrolled: 1-line block ×5, first 2 shown]
	ds_write_b64 v164, v[76:77]
	ds_write_b64 v115, v[66:67]
	;; [unrolled: 1-line block ×5, first 2 shown]
	s_and_saveexec_b32 s1, vcc_lo
	s_cbranch_execz .LBB0_25
; %bb.24:
	v_perm_b32 v56, v133, v132, 0x5040100
	v_perm_b32 v55, v131, v53, 0x5040100
	ds_write_b64 v117, v[55:56]
.LBB0_25:
	s_or_b32 exec_lo, exec_lo, s1
	v_add_nc_u32_e32 v55, 0x800, v79
	v_add_nc_u32_e32 v56, 0xc00, v79
	;; [unrolled: 1-line block ×6, first 2 shown]
	s_waitcnt lgkmcnt(0)
	s_barrier
	buffer_gl0_inv
	ds_read2_b32 v[61:62], v79 offset1:56
	ds_read2_b32 v[75:76], v55 offset0:188 offset1:244
	ds_read2_b32 v[63:64], v79 offset0:112 offset1:168
	;; [unrolled: 1-line block ×11, first 2 shown]
	s_and_saveexec_b32 s1, vcc_lo
	s_cbranch_execz .LBB0_27
; %bb.26:
	ds_read_b32 v53, v79 offset:2688
	ds_read_b32 v132, v79 offset:5488
	s_waitcnt lgkmcnt(1)
	v_lshrrev_b32_e32 v131, 16, v53
	s_waitcnt lgkmcnt(0)
	v_lshrrev_b32_e32 v133, 16, v132
.LBB0_27:
	s_or_b32 exec_lo, exec_lo, s1
	s_waitcnt lgkmcnt(10)
	v_lshrrev_b32_e32 v112, 16, v75
	v_lshrrev_b32_e32 v114, 16, v76
	s_waitcnt lgkmcnt(8)
	v_lshrrev_b32_e32 v116, 16, v77
	v_lshrrev_b32_e32 v134, 16, v78
	s_waitcnt lgkmcnt(6)
	v_lshrrev_b32_e32 v161, 16, v74
	v_mul_f16_sdwa v171, v108, v112 dst_sel:DWORD dst_unused:UNUSED_PAD src0_sel:WORD_1 src1_sel:DWORD
	v_mul_f16_sdwa v173, v108, v75 dst_sel:DWORD dst_unused:UNUSED_PAD src0_sel:WORD_1 src1_sel:DWORD
	;; [unrolled: 1-line block ×4, first 2 shown]
	v_lshrrev_b32_e32 v136, 16, v73
	v_fmac_f16_e32 v171, v108, v75
	v_mul_f16_sdwa v75, v108, v114 dst_sel:DWORD dst_unused:UNUSED_PAD src0_sel:WORD_1 src1_sel:DWORD
	s_waitcnt lgkmcnt(4)
	v_lshrrev_b32_e32 v163, 16, v71
	v_fma_f16 v112, v108, v112, -v173
	v_mul_f16_sdwa v173, v108, v76 dst_sel:DWORD dst_unused:UNUSED_PAD src0_sel:WORD_1 src1_sel:DWORD
	v_fmac_f16_e32 v176, v108, v77
	v_fmac_f16_e32 v75, v108, v76
	v_mul_f16_sdwa v76, v108, v134 dst_sel:DWORD dst_unused:UNUSED_PAD src0_sel:WORD_1 src1_sel:DWORD
	v_fma_f16 v77, v108, v116, -v177
	v_mul_f16_sdwa v116, v108, v78 dst_sel:DWORD dst_unused:UNUSED_PAD src0_sel:WORD_1 src1_sel:DWORD
	v_mul_f16_sdwa v177, v108, v161 dst_sel:DWORD dst_unused:UNUSED_PAD src0_sel:WORD_1 src1_sel:DWORD
	v_lshrrev_b32_e32 v165, 16, v72
	s_waitcnt lgkmcnt(2)
	v_lshrrev_b32_e32 v167, 16, v69
	v_fma_f16 v114, v108, v114, -v173
	v_fmac_f16_e32 v76, v108, v78
	v_mul_f16_sdwa v78, v108, v136 dst_sel:DWORD dst_unused:UNUSED_PAD src0_sel:WORD_1 src1_sel:DWORD
	v_mul_f16_sdwa v173, v108, v73 dst_sel:DWORD dst_unused:UNUSED_PAD src0_sel:WORD_1 src1_sel:DWORD
	v_fma_f16 v116, v108, v134, -v116
	v_mul_f16_sdwa v134, v108, v74 dst_sel:DWORD dst_unused:UNUSED_PAD src0_sel:WORD_1 src1_sel:DWORD
	v_fmac_f16_e32 v177, v108, v74
	v_mul_f16_sdwa v74, v108, v163 dst_sel:DWORD dst_unused:UNUSED_PAD src0_sel:WORD_1 src1_sel:DWORD
	v_lshrrev_b32_e32 v169, 16, v70
	s_waitcnt lgkmcnt(0)
	v_lshrrev_b32_e32 v172, 16, v67
	v_fmac_f16_e32 v78, v108, v73
	v_fma_f16 v73, v108, v136, -v173
	v_fma_f16 v134, v108, v161, -v134
	v_mul_f16_sdwa v136, v108, v71 dst_sel:DWORD dst_unused:UNUSED_PAD src0_sel:WORD_1 src1_sel:DWORD
	v_mul_f16_sdwa v161, v108, v165 dst_sel:DWORD dst_unused:UNUSED_PAD src0_sel:WORD_1 src1_sel:DWORD
	;; [unrolled: 1-line block ×3, first 2 shown]
	v_fmac_f16_e32 v74, v108, v71
	v_mul_f16_sdwa v71, v108, v167 dst_sel:DWORD dst_unused:UNUSED_PAD src0_sel:WORD_1 src1_sel:DWORD
	v_lshrrev_b32_e32 v175, 16, v68
	v_fma_f16 v136, v108, v163, -v136
	v_fmac_f16_e32 v161, v108, v72
	v_fma_f16 v72, v108, v165, -v173
	v_mul_f16_sdwa v163, v108, v69 dst_sel:DWORD dst_unused:UNUSED_PAD src0_sel:WORD_1 src1_sel:DWORD
	v_fmac_f16_e32 v71, v108, v69
	v_mul_f16_sdwa v69, v108, v169 dst_sel:DWORD dst_unused:UNUSED_PAD src0_sel:WORD_1 src1_sel:DWORD
	v_mul_f16_sdwa v165, v108, v70 dst_sel:DWORD dst_unused:UNUSED_PAD src0_sel:WORD_1 src1_sel:DWORD
	;; [unrolled: 1-line block ×3, first 2 shown]
	v_lshrrev_b32_e32 v111, 16, v61
	v_lshrrev_b32_e32 v113, 16, v62
	v_fma_f16 v163, v108, v167, -v163
	v_mul_f16_sdwa v167, v108, v67 dst_sel:DWORD dst_unused:UNUSED_PAD src0_sel:WORD_1 src1_sel:DWORD
	v_fmac_f16_e32 v69, v108, v70
	v_fma_f16 v70, v108, v169, -v165
	v_fmac_f16_e32 v173, v108, v67
	v_mul_f16_sdwa v67, v108, v175 dst_sel:DWORD dst_unused:UNUSED_PAD src0_sel:WORD_1 src1_sel:DWORD
	v_mul_f16_sdwa v169, v108, v133 dst_sel:DWORD dst_unused:UNUSED_PAD src0_sel:WORD_1 src1_sel:DWORD
	v_lshrrev_b32_e32 v115, 16, v63
	v_fma_f16 v165, v108, v172, -v167
	v_mul_f16_sdwa v167, v108, v68 dst_sel:DWORD dst_unused:UNUSED_PAD src0_sel:WORD_1 src1_sel:DWORD
	v_mul_f16_sdwa v172, v108, v132 dst_sel:DWORD dst_unused:UNUSED_PAD src0_sel:WORD_1 src1_sel:DWORD
	v_fmac_f16_e32 v67, v108, v68
	v_sub_f16_e32 v68, v61, v171
	v_fmac_f16_e32 v169, v108, v132
	v_sub_f16_e32 v132, v111, v112
	v_sub_f16_e32 v114, v113, v114
	v_lshrrev_b32_e32 v117, 16, v64
	v_sub_f16_e32 v75, v62, v75
	v_lshrrev_b32_e32 v135, 16, v65
	v_lshrrev_b32_e32 v160, 16, v66
	;; [unrolled: 1-line block ×4, first 2 shown]
	v_fma_f16 v167, v108, v175, -v167
	v_fma_f16 v108, v108, v133, -v172
	v_fma_f16 v61, v61, 2.0, -v68
	v_sub_f16_e32 v133, v63, v176
	v_fma_f16 v171, v111, 2.0, -v132
	v_sub_f16_e32 v77, v115, v77
	;; [unrolled: 2-line block ×3, first 2 shown]
	v_lshrrev_b32_e32 v166, 16, v57
	v_fma_f16 v62, v62, 2.0, -v75
	v_sub_f16_e32 v76, v64, v76
	v_sub_f16_e32 v116, v117, v116
	v_lshrrev_b32_e32 v168, 16, v58
	v_sub_f16_e32 v78, v65, v78
	v_sub_f16_e32 v73, v135, v73
	v_lshrrev_b32_e32 v170, 16, v55
	v_sub_f16_e32 v175, v66, v177
	v_sub_f16_e32 v134, v160, v134
	v_lshrrev_b32_e32 v174, 16, v56
	v_sub_f16_e32 v74, v59, v74
	v_sub_f16_e32 v136, v162, v136
	v_fma_f16 v63, v63, 2.0, -v133
	v_fma_f16 v115, v115, 2.0, -v77
	v_sub_f16_e32 v161, v60, v161
	v_sub_f16_e32 v72, v164, v72
	;; [unrolled: 1-line block ×3, first 2 shown]
	v_fma_f16 v108, v53, 2.0, -v113
	v_pack_b32_f16 v53, v61, v171
	v_pack_b32_f16 v61, v68, v132
	v_fma_f16 v64, v64, 2.0, -v76
	v_fma_f16 v117, v117, 2.0, -v116
	v_sub_f16_e32 v71, v57, v71
	v_sub_f16_e32 v163, v166, v163
	v_pack_b32_f16 v62, v62, v172
	v_pack_b32_f16 v68, v75, v114
	v_fma_f16 v65, v65, 2.0, -v78
	v_fma_f16 v135, v135, 2.0, -v73
	v_sub_f16_e32 v69, v58, v69
	v_sub_f16_e32 v70, v168, v70
	v_fma_f16 v66, v66, 2.0, -v175
	v_fma_f16 v160, v160, 2.0, -v134
	v_sub_f16_e32 v173, v55, v173
	v_sub_f16_e32 v165, v170, v165
	;; [unrolled: 4-line block ×3, first 2 shown]
	v_fma_f16 v60, v60, 2.0, -v161
	v_fma_f16 v164, v164, 2.0, -v72
	s_barrier
	buffer_gl0_inv
	ds_write2_b32 v128, v53, v61 offset1:2
	ds_write2_b32 v129, v62, v68 offset1:2
	v_pack_b32_f16 v53, v63, v115
	v_pack_b32_f16 v61, v133, v77
	v_fma_f16 v57, v57, 2.0, -v71
	v_fma_f16 v166, v166, 2.0, -v163
	v_pack_b32_f16 v62, v64, v117
	v_pack_b32_f16 v63, v76, v116
	v_fma_f16 v58, v58, 2.0, -v69
	v_fma_f16 v168, v168, 2.0, -v70
	;; [unrolled: 4-line block ×4, first 2 shown]
	v_pack_b32_f16 v59, v59, v162
	v_pack_b32_f16 v73, v74, v136
	v_fma_f16 v111, v131, 2.0, -v112
	ds_write2_b32 v123, v53, v61 offset1:2
	ds_write2_b32 v124, v62, v63 offset1:2
	;; [unrolled: 1-line block ×5, first 2 shown]
	v_pack_b32_f16 v53, v60, v164
	v_pack_b32_f16 v59, v161, v72
	;; [unrolled: 1-line block ×10, first 2 shown]
	ds_write2_b32 v118, v53, v59 offset1:2
	ds_write2_b32 v119, v57, v60 offset1:2
	;; [unrolled: 1-line block ×5, first 2 shown]
	s_and_saveexec_b32 s1, vcc_lo
	s_cbranch_execz .LBB0_29
; %bb.28:
	v_and_or_b32 v53, 0x57c, v106, v107
	v_perm_b32 v55, v111, v108, 0x5040100
	v_perm_b32 v56, v112, v113, 0x5040100
	v_lshlrev_b32_e32 v53, 2, v53
	ds_write2_b32 v53, v55, v56 offset1:2
.LBB0_29:
	s_or_b32 exec_lo, exec_lo, s1
	v_add_nc_u32_e32 v53, 0x800, v79
	v_add_nc_u32_e32 v55, 0xc00, v79
	v_add_nc_u32_e32 v56, 0x200, v79
	v_add_nc_u32_e32 v67, 0x1000, v79
	v_add_nc_u32_e32 v59, 0x400, v79
	v_add_nc_u32_e32 v68, 0x1200, v79
	s_waitcnt lgkmcnt(0)
	s_barrier
	buffer_gl0_inv
	ds_read2_b32 v[65:66], v79 offset1:56
	ds_read2_b32 v[77:78], v53 offset0:188 offset1:244
	ds_read2_b32 v[63:64], v79 offset0:112 offset1:168
	;; [unrolled: 1-line block ×11, first 2 shown]
	s_and_saveexec_b32 s1, vcc_lo
	s_cbranch_execz .LBB0_31
; %bb.30:
	ds_read_b32 v108, v79 offset:2688
	ds_read_b32 v113, v79 offset:5488
	s_waitcnt lgkmcnt(1)
	v_lshrrev_b32_e32 v111, 16, v108
	s_waitcnt lgkmcnt(0)
	v_lshrrev_b32_e32 v112, 16, v113
.LBB0_31:
	s_or_b32 exec_lo, exec_lo, s1
	s_waitcnt lgkmcnt(10)
	v_lshrrev_b32_e32 v107, 16, v77
	v_lshrrev_b32_e32 v115, 16, v78
	s_waitcnt lgkmcnt(8)
	v_lshrrev_b32_e32 v117, 16, v75
	v_mul_f16_sdwa v163, v130, v78 dst_sel:DWORD dst_unused:UNUSED_PAD src0_sel:WORD_1 src1_sel:DWORD
	v_lshrrev_b32_e32 v119, 16, v76
	v_mul_f16_sdwa v136, v130, v107 dst_sel:DWORD dst_unused:UNUSED_PAD src0_sel:WORD_1 src1_sel:DWORD
	v_mul_f16_sdwa v162, v130, v115 dst_sel:DWORD dst_unused:UNUSED_PAD src0_sel:WORD_1 src1_sel:DWORD
	s_waitcnt lgkmcnt(6)
	v_lshrrev_b32_e32 v121, 16, v71
	v_mul_f16_sdwa v161, v130, v77 dst_sel:DWORD dst_unused:UNUSED_PAD src0_sel:WORD_1 src1_sel:DWORD
	v_lshrrev_b32_e32 v123, 16, v72
	v_fmac_f16_e32 v136, v130, v77
	v_mul_f16_sdwa v77, v130, v117 dst_sel:DWORD dst_unused:UNUSED_PAD src0_sel:WORD_1 src1_sel:DWORD
	v_fmac_f16_e32 v162, v130, v78
	v_fma_f16 v78, v130, v115, -v163
	v_mul_f16_sdwa v115, v130, v75 dst_sel:DWORD dst_unused:UNUSED_PAD src0_sel:WORD_1 src1_sel:DWORD
	s_waitcnt lgkmcnt(4)
	v_lshrrev_b32_e32 v125, 16, v73
	v_fma_f16 v107, v130, v107, -v161
	v_fmac_f16_e32 v77, v130, v75
	v_mul_f16_sdwa v75, v130, v119 dst_sel:DWORD dst_unused:UNUSED_PAD src0_sel:WORD_1 src1_sel:DWORD
	v_mul_f16_sdwa v161, v130, v76 dst_sel:DWORD dst_unused:UNUSED_PAD src0_sel:WORD_1 src1_sel:DWORD
	;; [unrolled: 1-line block ×3, first 2 shown]
	v_fma_f16 v115, v130, v117, -v115
	v_mul_f16_sdwa v117, v130, v71 dst_sel:DWORD dst_unused:UNUSED_PAD src0_sel:WORD_1 src1_sel:DWORD
	v_lshrrev_b32_e32 v127, 16, v74
	s_waitcnt lgkmcnt(2)
	v_lshrrev_b32_e32 v132, 16, v70
	v_fmac_f16_e32 v75, v130, v76
	v_fma_f16 v76, v130, v119, -v161
	v_fmac_f16_e32 v163, v130, v71
	v_mul_f16_sdwa v71, v130, v123 dst_sel:DWORD dst_unused:UNUSED_PAD src0_sel:WORD_1 src1_sel:DWORD
	v_fma_f16 v117, v130, v121, -v117
	v_mul_f16_sdwa v119, v130, v72 dst_sel:DWORD dst_unused:UNUSED_PAD src0_sel:WORD_1 src1_sel:DWORD
	v_mul_f16_sdwa v121, v130, v125 dst_sel:DWORD dst_unused:UNUSED_PAD src0_sel:WORD_1 src1_sel:DWORD
	;; [unrolled: 1-line block ×3, first 2 shown]
	v_lshrrev_b32_e32 v129, 16, v69
	s_waitcnt lgkmcnt(0)
	v_lshrrev_b32_e32 v134, 16, v67
	v_fmac_f16_e32 v71, v130, v72
	v_mul_f16_sdwa v72, v130, v127 dst_sel:DWORD dst_unused:UNUSED_PAD src0_sel:WORD_1 src1_sel:DWORD
	v_fma_f16 v119, v130, v123, -v119
	v_fmac_f16_e32 v121, v130, v73
	v_fma_f16 v73, v130, v125, -v161
	v_mul_f16_sdwa v123, v130, v74 dst_sel:DWORD dst_unused:UNUSED_PAD src0_sel:WORD_1 src1_sel:DWORD
	v_mul_f16_sdwa v161, v130, v132 dst_sel:DWORD dst_unused:UNUSED_PAD src0_sel:WORD_1 src1_sel:DWORD
	v_lshrrev_b32_e32 v160, 16, v68
	v_fmac_f16_e32 v72, v130, v74
	v_mul_f16_sdwa v74, v130, v129 dst_sel:DWORD dst_unused:UNUSED_PAD src0_sel:WORD_1 src1_sel:DWORD
	v_mul_f16_sdwa v125, v130, v69 dst_sel:DWORD dst_unused:UNUSED_PAD src0_sel:WORD_1 src1_sel:DWORD
	v_fma_f16 v123, v130, v127, -v123
	v_mul_f16_sdwa v127, v130, v70 dst_sel:DWORD dst_unused:UNUSED_PAD src0_sel:WORD_1 src1_sel:DWORD
	v_fmac_f16_e32 v161, v130, v70
	v_mul_f16_sdwa v70, v130, v134 dst_sel:DWORD dst_unused:UNUSED_PAD src0_sel:WORD_1 src1_sel:DWORD
	v_lshrrev_b32_e32 v53, 16, v65
	v_fmac_f16_e32 v74, v130, v69
	v_fma_f16 v69, v130, v129, -v125
	v_fma_f16 v125, v130, v132, -v127
	v_mul_f16_sdwa v127, v130, v67 dst_sel:DWORD dst_unused:UNUSED_PAD src0_sel:WORD_1 src1_sel:DWORD
	v_mul_f16_sdwa v129, v130, v160 dst_sel:DWORD dst_unused:UNUSED_PAD src0_sel:WORD_1 src1_sel:DWORD
	;; [unrolled: 1-line block ×3, first 2 shown]
	v_fmac_f16_e32 v70, v130, v67
	v_mul_f16_sdwa v67, v130, v112 dst_sel:DWORD dst_unused:UNUSED_PAD src0_sel:WORD_1 src1_sel:DWORD
	v_lshrrev_b32_e32 v114, 16, v66
	v_lshrrev_b32_e32 v116, 16, v63
	v_fmac_f16_e32 v129, v130, v68
	v_fma_f16 v68, v130, v160, -v132
	v_mul_f16_sdwa v132, v130, v113 dst_sel:DWORD dst_unused:UNUSED_PAD src0_sel:WORD_1 src1_sel:DWORD
	v_fmac_f16_e32 v67, v130, v113
	v_sub_f16_e32 v113, v65, v136
	v_sub_f16_e32 v107, v53, v107
	v_lshrrev_b32_e32 v118, 16, v64
	v_fma_f16 v127, v130, v134, -v127
	v_sub_f16_e32 v134, v66, v162
	v_sub_f16_e32 v78, v114, v78
	v_lshrrev_b32_e32 v120, 16, v61
	v_lshrrev_b32_e32 v122, 16, v62
	v_lshrrev_b32_e32 v124, 16, v57
	v_lshrrev_b32_e32 v126, 16, v58
	v_fma_f16 v112, v130, v112, -v132
	v_fma_f16 v65, v65, 2.0, -v113
	v_fma_f16 v130, v53, 2.0, -v107
	v_sub_f16_e32 v77, v63, v77
	v_sub_f16_e32 v115, v116, v115
	v_lshrrev_b32_e32 v128, 16, v59
	v_fma_f16 v66, v66, 2.0, -v134
	v_fma_f16 v114, v114, 2.0, -v78
	v_sub_f16_e32 v132, v64, v75
	v_sub_f16_e32 v76, v118, v76
	v_lshrrev_b32_e32 v131, 16, v60
	v_sub_f16_e32 v136, v61, v163
	v_sub_f16_e32 v117, v120, v117
	v_lshrrev_b32_e32 v133, 16, v55
	;; [unrolled: 3-line block ×3, first 2 shown]
	v_sub_f16_e32 v121, v57, v121
	v_sub_f16_e32 v73, v124, v73
	v_fma_f16 v63, v63, 2.0, -v77
	v_fma_f16 v116, v116, 2.0, -v115
	v_sub_f16_e32 v72, v58, v72
	v_sub_f16_e32 v123, v126, v123
	v_sub_f16_e32 v53, v108, v67
	v_pack_b32_f16 v65, v65, v130
	v_pack_b32_f16 v67, v113, v107
	v_fma_f16 v64, v64, 2.0, -v132
	v_fma_f16 v118, v118, 2.0, -v76
	v_sub_f16_e32 v74, v59, v74
	v_sub_f16_e32 v69, v128, v69
	v_pack_b32_f16 v66, v66, v114
	v_pack_b32_f16 v78, v134, v78
	v_fma_f16 v61, v61, 2.0, -v136
	v_fma_f16 v120, v120, 2.0, -v117
	v_sub_f16_e32 v160, v60, v161
	v_sub_f16_e32 v125, v131, v125
	v_fma_f16 v62, v62, 2.0, -v71
	v_fma_f16 v122, v122, 2.0, -v119
	v_sub_f16_e32 v70, v55, v70
	v_sub_f16_e32 v127, v133, v127
	;; [unrolled: 4-line block ×3, first 2 shown]
	v_fma_f16 v58, v58, 2.0, -v72
	v_fma_f16 v126, v126, 2.0, -v123
	s_barrier
	buffer_gl0_inv
	ds_write2_b32 v147, v65, v67 offset1:4
	ds_write2_b32 v148, v66, v78 offset1:4
	v_pack_b32_f16 v63, v63, v116
	v_pack_b32_f16 v65, v77, v115
	v_fma_f16 v59, v59, 2.0, -v74
	v_fma_f16 v128, v128, 2.0, -v69
	v_pack_b32_f16 v64, v64, v118
	v_pack_b32_f16 v66, v132, v76
	v_fma_f16 v60, v60, 2.0, -v160
	v_fma_f16 v131, v131, 2.0, -v125
	;; [unrolled: 4-line block ×4, first 2 shown]
	v_pack_b32_f16 v57, v57, v124
	v_pack_b32_f16 v73, v121, v73
	v_sub_f16_e32 v75, v111, v112
	ds_write2_b32 v142, v63, v65 offset1:4
	ds_write2_b32 v143, v64, v66 offset1:4
	;; [unrolled: 1-line block ×5, first 2 shown]
	v_pack_b32_f16 v57, v58, v126
	v_pack_b32_f16 v58, v72, v123
	;; [unrolled: 1-line block ×10, first 2 shown]
	ds_write2_b32 v137, v57, v58 offset1:4
	ds_write2_b32 v138, v59, v61 offset1:4
	;; [unrolled: 1-line block ×5, first 2 shown]
	s_and_saveexec_b32 s1, vcc_lo
	s_cbranch_execz .LBB0_33
; %bb.32:
	v_fma_f16 v55, v108, 2.0, -v53
	v_and_or_b32 v56, 0x578, v106, v110
	v_fma_f16 v57, v111, 2.0, -v75
	v_lshlrev_b32_e32 v56, 2, v56
	v_pack_b32_f16 v55, v55, v57
	v_perm_b32 v57, v75, v53, 0x5040100
	ds_write2_b32 v56, v55, v57 offset1:4
.LBB0_33:
	s_or_b32 exec_lo, exec_lo, s1
	v_add_nc_u32_e32 v77, 0x200, v79
	v_add_nc_u32_e32 v63, 0x800, v79
	s_waitcnt lgkmcnt(0)
	s_barrier
	buffer_gl0_inv
	ds_read2_b32 v[57:58], v79 offset1:56
	ds_read2_b32 v[55:56], v77 offset0:96 offset1:152
	ds_read2_b32 v[69:70], v63 offset0:48 offset1:104
	v_add_nc_u32_e32 v61, 0xc00, v79
	v_add_nc_u32_e32 v64, 0x1000, v79
	;; [unrolled: 1-line block ×3, first 2 shown]
	ds_read2_b32 v[71:72], v61 offset0:16 offset1:72
	ds_read2_b32 v[73:74], v64 offset0:96 offset1:152
	;; [unrolled: 1-line block ×6, first 2 shown]
	v_add_nc_u32_e32 v62, 0x1200, v79
	v_add_nc_u32_e32 v66, 0xe00, v79
	ds_read2_b32 v[114:115], v62 offset0:80 offset1:136
	ds_read2_b32 v[116:117], v65 offset0:192 offset1:248
	;; [unrolled: 1-line block ×3, first 2 shown]
	ds_read_b32 v122, v79 offset:5376
	s_waitcnt lgkmcnt(0)
	s_barrier
	buffer_gl0_inv
	v_lshrrev_b32_e32 v78, 16, v56
	v_lshrrev_b32_e32 v108, 16, v69
	;; [unrolled: 1-line block ×3, first 2 shown]
	v_mul_f16_sdwa v141, v5, v69 dst_sel:DWORD dst_unused:UNUSED_PAD src0_sel:WORD_1 src1_sel:DWORD
	v_lshrrev_b32_e32 v120, 16, v72
	v_mul_f16_sdwa v135, v4, v78 dst_sel:DWORD dst_unused:UNUSED_PAD src0_sel:WORD_1 src1_sel:DWORD
	v_mul_f16_sdwa v140, v5, v108 dst_sel:DWORD dst_unused:UNUSED_PAD src0_sel:WORD_1 src1_sel:DWORD
	v_lshrrev_b32_e32 v121, 16, v73
	v_lshrrev_b32_e32 v123, 16, v106
	v_mul_f16_sdwa v142, v6, v120 dst_sel:DWORD dst_unused:UNUSED_PAD src0_sel:WORD_1 src1_sel:DWORD
	v_fmac_f16_e32 v135, v4, v56
	v_mul_f16_sdwa v56, v4, v56 dst_sel:DWORD dst_unused:UNUSED_PAD src0_sel:WORD_1 src1_sel:DWORD
	v_mul_f16_sdwa v143, v6, v72 dst_sel:DWORD dst_unused:UNUSED_PAD src0_sel:WORD_1 src1_sel:DWORD
	v_fmac_f16_e32 v140, v5, v69
	v_mul_f16_sdwa v69, v7, v73 dst_sel:DWORD dst_unused:UNUSED_PAD src0_sel:WORD_1 src1_sel:DWORD
	v_mul_f16_sdwa v144, v5, v124 dst_sel:DWORD dst_unused:UNUSED_PAD src0_sel:WORD_1 src1_sel:DWORD
	v_lshrrev_b32_e32 v125, 16, v110
	v_lshrrev_b32_e32 v128, 16, v112
	;; [unrolled: 1-line block ×3, first 2 shown]
	v_fma_f16 v56, v4, v78, -v56
	v_fma_f16 v78, v5, v108, -v141
	v_fmac_f16_e32 v142, v6, v72
	v_fma_f16 v120, v6, v120, -v143
	v_mul_f16_sdwa v141, v7, v121 dst_sel:DWORD dst_unused:UNUSED_PAD src0_sel:WORD_1 src1_sel:DWORD
	v_mul_f16_sdwa v143, v4, v123 dst_sel:DWORD dst_unused:UNUSED_PAD src0_sel:WORD_1 src1_sel:DWORD
	;; [unrolled: 1-line block ×3, first 2 shown]
	v_fma_f16 v121, v7, v121, -v69
	v_fmac_f16_e32 v144, v5, v70
	v_mul_f16_sdwa v69, v5, v70 dst_sel:DWORD dst_unused:UNUSED_PAD src0_sel:WORD_1 src1_sel:DWORD
	v_mul_f16_sdwa v70, v6, v110 dst_sel:DWORD dst_unused:UNUSED_PAD src0_sel:WORD_1 src1_sel:DWORD
	v_lshrrev_b32_e32 v126, 16, v74
	v_lshrrev_b32_e32 v127, 16, v107
	;; [unrolled: 1-line block ×4, first 2 shown]
	v_fmac_f16_e32 v143, v4, v106
	v_fma_f16 v106, v4, v123, -v72
	v_mul_f16_sdwa v123, v6, v125 dst_sel:DWORD dst_unused:UNUSED_PAD src0_sel:WORD_1 src1_sel:DWORD
	v_mul_f16_sdwa v72, v7, v74 dst_sel:DWORD dst_unused:UNUSED_PAD src0_sel:WORD_1 src1_sel:DWORD
	v_fma_f16 v124, v5, v124, -v69
	v_fma_f16 v125, v6, v125, -v70
	v_mul_f16_sdwa v69, v4, v107 dst_sel:DWORD dst_unused:UNUSED_PAD src0_sel:WORD_1 src1_sel:DWORD
	v_mul_f16_sdwa v147, v5, v128 dst_sel:DWORD dst_unused:UNUSED_PAD src0_sel:WORD_1 src1_sel:DWORD
	;; [unrolled: 1-line block ×4, first 2 shown]
	v_lshrrev_b32_e32 v132, 16, v113
	v_lshrrev_b32_e32 v133, 16, v118
	;; [unrolled: 1-line block ×3, first 2 shown]
	v_mul_f16_sdwa v145, v7, v126 dst_sel:DWORD dst_unused:UNUSED_PAD src0_sel:WORD_1 src1_sel:DWORD
	v_fma_f16 v126, v7, v126, -v72
	v_mul_f16_sdwa v146, v4, v127 dst_sel:DWORD dst_unused:UNUSED_PAD src0_sel:WORD_1 src1_sel:DWORD
	v_fma_f16 v127, v4, v127, -v69
	v_fmac_f16_e32 v147, v5, v112
	v_fma_f16 v112, v5, v128, -v70
	v_fmac_f16_e32 v148, v6, v111
	v_mul_f16_sdwa v69, v6, v111 dst_sel:DWORD dst_unused:UNUSED_PAD src0_sel:WORD_1 src1_sel:DWORD
	v_mul_f16_sdwa v111, v7, v130 dst_sel:DWORD dst_unused:UNUSED_PAD src0_sel:WORD_1 src1_sel:DWORD
	;; [unrolled: 1-line block ×5, first 2 shown]
	v_lshrrev_b32_e32 v136, 16, v117
	v_fmac_f16_e32 v145, v7, v74
	v_fma_f16 v129, v6, v129, -v69
	v_fmac_f16_e32 v111, v7, v114
	v_fma_f16 v114, v7, v130, -v70
	;; [unrolled: 2-line block ×3, first 2 shown]
	v_mul_f16_sdwa v130, v5, v132 dst_sel:DWORD dst_unused:UNUSED_PAD src0_sel:WORD_1 src1_sel:DWORD
	v_mul_f16_sdwa v69, v5, v113 dst_sel:DWORD dst_unused:UNUSED_PAD src0_sel:WORD_1 src1_sel:DWORD
	;; [unrolled: 1-line block ×6, first 2 shown]
	v_lshrrev_b32_e32 v134, 16, v115
	v_lshrrev_b32_e32 v138, 16, v119
	;; [unrolled: 1-line block ×3, first 2 shown]
	v_fmac_f16_e32 v141, v7, v73
	v_fmac_f16_e32 v130, v5, v113
	v_fma_f16 v113, v5, v132, -v69
	v_fmac_f16_e32 v131, v6, v118
	v_fma_f16 v118, v6, v133, -v70
	v_mul_f16_sdwa v73, v4, v136 dst_sel:DWORD dst_unused:UNUSED_PAD src0_sel:WORD_1 src1_sel:DWORD
	v_mul_f16_sdwa v70, v4, v117 dst_sel:DWORD dst_unused:UNUSED_PAD src0_sel:WORD_1 src1_sel:DWORD
	v_fmac_f16_e32 v72, v5, v71
	v_fma_f16 v71, v5, v137, -v74
	v_mul_f16_sdwa v5, v6, v119 dst_sel:DWORD dst_unused:UNUSED_PAD src0_sel:WORD_1 src1_sel:DWORD
	v_add_f16_e32 v108, v57, v135
	v_fmac_f16_e32 v146, v4, v107
	v_mul_f16_sdwa v160, v7, v134 dst_sel:DWORD dst_unused:UNUSED_PAD src0_sel:WORD_1 src1_sel:DWORD
	v_mul_f16_sdwa v69, v7, v115 dst_sel:DWORD dst_unused:UNUSED_PAD src0_sel:WORD_1 src1_sel:DWORD
	v_fmac_f16_e32 v73, v4, v117
	v_fma_f16 v70, v4, v136, -v70
	v_add_f16_e32 v4, v140, v142
	v_mul_f16_sdwa v107, v6, v138 dst_sel:DWORD dst_unused:UNUSED_PAD src0_sel:WORD_1 src1_sel:DWORD
	v_mul_f16_sdwa v117, v7, v139 dst_sel:DWORD dst_unused:UNUSED_PAD src0_sel:WORD_1 src1_sel:DWORD
	v_fma_f16 v74, v6, v138, -v5
	v_add_f16_e32 v5, v108, v140
	v_add_f16_e32 v132, v135, v141
	v_lshrrev_b32_e32 v68, 16, v57
	v_fmac_f16_e32 v123, v6, v110
	v_fmac_f16_e32 v160, v7, v115
	v_fma_f16 v115, v7, v134, -v69
	v_fma_f16 v69, -0.5, v4, v57
	v_sub_f16_e32 v4, v56, v121
	v_fmac_f16_e32 v107, v6, v119
	v_fmac_f16_e32 v117, v7, v122
	v_sub_f16_e32 v119, v78, v120
	v_sub_f16_e32 v108, v135, v140
	;; [unrolled: 1-line block ×3, first 2 shown]
	v_mul_f16_sdwa v122, v7, v122 dst_sel:DWORD dst_unused:UNUSED_PAD src0_sel:WORD_1 src1_sel:DWORD
	v_add_f16_e32 v5, v5, v142
	v_fma_f16 v57, -0.5, v132, v57
	v_fmamk_f16 v6, v4, 0xbb9c, v69
	v_add_f16_e32 v133, v108, v110
	v_fma_f16 v110, v7, v139, -v122
	v_add_f16_e32 v7, v5, v141
	v_fmac_f16_e32 v69, 0x3b9c, v4
	v_fmamk_f16 v108, v119, 0x3b9c, v57
	v_sub_f16_e32 v5, v140, v135
	v_sub_f16_e32 v122, v142, v141
	v_add_f16_e32 v132, v68, v56
	v_add_f16_e32 v134, v78, v120
	v_fmac_f16_e32 v57, 0xbb9c, v119
	v_fmac_f16_e32 v6, 0xb8b4, v119
	v_fmac_f16_e32 v69, 0x38b4, v119
	v_fmac_f16_e32 v108, 0xb8b4, v4
	v_add_f16_e32 v5, v5, v122
	v_add_f16_e32 v119, v132, v78
	v_fma_f16 v122, -0.5, v134, v68
	v_sub_f16_e32 v132, v135, v141
	v_fmac_f16_e32 v57, 0x38b4, v4
	v_fmac_f16_e32 v6, 0x34f2, v133
	;; [unrolled: 1-line block ×4, first 2 shown]
	v_add_f16_e32 v4, v119, v120
	v_fmamk_f16 v119, v132, 0x3b9c, v122
	v_add_f16_e32 v133, v56, v121
	v_sub_f16_e32 v134, v140, v142
	v_sub_f16_e32 v135, v56, v78
	;; [unrolled: 1-line block ×3, first 2 shown]
	v_fmac_f16_e32 v57, 0x34f2, v5
	v_fmac_f16_e32 v122, 0xbb9c, v132
	v_sub_f16_e32 v5, v78, v56
	v_sub_f16_e32 v56, v120, v121
	v_fmac_f16_e32 v68, -0.5, v133
	v_add_f16_e32 v133, v4, v121
	v_fmac_f16_e32 v119, 0x38b4, v134
	v_add_f16_e32 v4, v135, v136
	v_fmac_f16_e32 v122, 0xb8b4, v134
	v_add_f16_e32 v5, v5, v56
	v_add_f16_e32 v56, v58, v143
	v_fmamk_f16 v135, v134, 0xbb9c, v68
	v_fmac_f16_e32 v119, 0x34f2, v4
	v_fmac_f16_e32 v122, 0x34f2, v4
	;; [unrolled: 1-line block ×3, first 2 shown]
	v_add_f16_e32 v4, v56, v144
	v_lshrrev_b32_e32 v66, 16, v58
	v_add_f16_e32 v78, v144, v123
	v_fmac_f16_e32 v135, 0x38b4, v132
	v_sub_f16_e32 v134, v143, v144
	v_sub_f16_e32 v136, v145, v123
	v_add_f16_e32 v137, v143, v145
	v_fmac_f16_e32 v68, 0xb8b4, v132
	v_add_f16_e32 v4, v4, v123
	v_fma_f16 v120, -0.5, v78, v58
	v_sub_f16_e32 v78, v106, v126
	v_fmac_f16_e32 v135, 0x34f2, v5
	v_sub_f16_e32 v56, v124, v125
	v_add_f16_e32 v132, v134, v136
	v_fmac_f16_e32 v58, -0.5, v137
	v_fmac_f16_e32 v68, 0x34f2, v5
	v_add_f16_e32 v134, v4, v145
	v_sub_f16_e32 v4, v144, v143
	v_sub_f16_e32 v5, v123, v145
	v_add_f16_e32 v137, v66, v106
	v_fmamk_f16 v121, v78, 0xbb9c, v120
	v_fmac_f16_e32 v120, 0x3b9c, v78
	v_fmamk_f16 v136, v56, 0x3b9c, v58
	v_add_f16_e32 v138, v124, v125
	v_add_f16_e32 v4, v4, v5
	v_fmac_f16_e32 v58, 0xbb9c, v56
	v_add_f16_e32 v5, v137, v124
	v_fmac_f16_e32 v121, 0xb8b4, v56
	v_fmac_f16_e32 v120, 0x38b4, v56
	;; [unrolled: 1-line block ×3, first 2 shown]
	v_fma_f16 v137, -0.5, v138, v66
	v_sub_f16_e32 v56, v143, v145
	v_fmac_f16_e32 v58, 0x38b4, v78
	v_add_f16_e32 v5, v5, v125
	v_add_f16_e32 v78, v106, v126
	v_fmac_f16_e32 v121, 0x34f2, v132
	v_fmac_f16_e32 v120, 0x34f2, v132
	v_fmamk_f16 v132, v56, 0x3b9c, v137
	v_sub_f16_e32 v123, v144, v123
	v_sub_f16_e32 v138, v106, v124
	;; [unrolled: 1-line block ×3, first 2 shown]
	v_fmac_f16_e32 v66, -0.5, v78
	v_add_f16_e32 v140, v5, v126
	v_fmac_f16_e32 v137, 0xbb9c, v56
	v_sub_f16_e32 v5, v124, v106
	v_sub_f16_e32 v78, v125, v126
	v_fmac_f16_e32 v136, 0x34f2, v4
	v_fmac_f16_e32 v58, 0x34f2, v4
	;; [unrolled: 1-line block ×3, first 2 shown]
	v_add_f16_e32 v4, v138, v139
	v_fmac_f16_e32 v137, 0xb8b4, v123
	v_add_f16_e32 v5, v5, v78
	v_add_f16_e32 v78, v59, v146
	v_fmamk_f16 v138, v123, 0xbb9c, v66
	v_fmac_f16_e32 v132, 0x34f2, v4
	v_add_f16_e32 v106, v147, v148
	v_fmac_f16_e32 v137, 0x34f2, v4
	v_fmac_f16_e32 v66, 0x3b9c, v123
	v_add_f16_e32 v4, v78, v147
	v_lshrrev_b32_e32 v67, 16, v59
	v_fmac_f16_e32 v138, 0x38b4, v56
	v_fma_f16 v124, -0.5, v106, v59
	v_sub_f16_e32 v106, v127, v114
	v_sub_f16_e32 v125, v146, v147
	;; [unrolled: 1-line block ×3, first 2 shown]
	v_add_f16_e32 v139, v146, v111
	v_fmac_f16_e32 v66, 0xb8b4, v56
	v_add_f16_e32 v4, v4, v148
	v_fmac_f16_e32 v138, 0x34f2, v5
	v_fmamk_f16 v123, v106, 0xbb9c, v124
	v_sub_f16_e32 v78, v112, v129
	v_add_f16_e32 v56, v125, v126
	v_fma_f16 v59, -0.5, v139, v59
	v_fmac_f16_e32 v66, 0x34f2, v5
	v_add_f16_e32 v125, v4, v111
	v_fmac_f16_e32 v124, 0x3b9c, v106
	v_sub_f16_e32 v4, v147, v146
	v_sub_f16_e32 v5, v148, v111
	v_add_f16_e32 v139, v67, v127
	v_fmac_f16_e32 v123, 0xb8b4, v78
	v_fmac_f16_e32 v124, 0x38b4, v78
	v_add_f16_e32 v141, v112, v129
	v_add_f16_e32 v4, v4, v5
	;; [unrolled: 1-line block ×3, first 2 shown]
	v_fmac_f16_e32 v123, 0x34f2, v56
	v_fmamk_f16 v126, v78, 0x3b9c, v59
	v_fmac_f16_e32 v59, 0xbb9c, v78
	v_fma_f16 v139, -0.5, v141, v67
	v_sub_f16_e32 v78, v146, v111
	v_fmac_f16_e32 v124, 0x34f2, v56
	v_add_f16_e32 v5, v5, v129
	v_add_f16_e32 v56, v127, v114
	v_fmac_f16_e32 v126, 0xb8b4, v106
	v_fmac_f16_e32 v59, 0x38b4, v106
	v_fmamk_f16 v111, v78, 0x3b9c, v139
	v_sub_f16_e32 v106, v147, v148
	v_sub_f16_e32 v141, v127, v112
	v_sub_f16_e32 v142, v114, v129
	v_fmac_f16_e32 v67, -0.5, v56
	v_add_f16_e32 v143, v5, v114
	v_fmac_f16_e32 v139, 0xbb9c, v78
	v_sub_f16_e32 v5, v112, v127
	v_sub_f16_e32 v56, v129, v114
	v_fmac_f16_e32 v126, 0x34f2, v4
	v_fmac_f16_e32 v59, 0x34f2, v4
	;; [unrolled: 1-line block ×3, first 2 shown]
	v_add_f16_e32 v4, v141, v142
	v_fmac_f16_e32 v139, 0xb8b4, v106
	v_add_f16_e32 v5, v5, v56
	v_add_f16_e32 v56, v60, v128
	v_fmamk_f16 v141, v106, 0xbb9c, v67
	v_fmac_f16_e32 v111, 0x34f2, v4
	v_fmac_f16_e32 v139, 0x34f2, v4
	;; [unrolled: 1-line block ×3, first 2 shown]
	v_add_f16_e32 v4, v56, v130
	v_lshrrev_b32_e32 v62, 16, v60
	v_add_f16_e32 v112, v130, v131
	v_fmac_f16_e32 v141, 0x38b4, v78
	v_sub_f16_e32 v106, v128, v130
	v_sub_f16_e32 v129, v160, v131
	v_fmac_f16_e32 v67, 0xb8b4, v78
	v_add_f16_e32 v4, v4, v131
	v_fma_f16 v112, -0.5, v112, v60
	v_sub_f16_e32 v114, v116, v115
	v_fmac_f16_e32 v141, 0x34f2, v5
	v_add_f16_e32 v142, v128, v160
	v_add_f16_e32 v78, v106, v129
	v_fmac_f16_e32 v67, 0x34f2, v5
	v_add_f16_e32 v129, v4, v160
	v_sub_f16_e32 v4, v130, v128
	v_sub_f16_e32 v5, v131, v160
	v_add_f16_e32 v106, v62, v116
	v_fmamk_f16 v127, v114, 0xbb9c, v112
	v_sub_f16_e32 v56, v113, v118
	v_fmac_f16_e32 v60, -0.5, v142
	v_fmac_f16_e32 v112, 0x3b9c, v114
	v_add_f16_e32 v144, v113, v118
	v_add_f16_e32 v4, v4, v5
	;; [unrolled: 1-line block ×3, first 2 shown]
	v_fmac_f16_e32 v127, 0xb8b4, v56
	v_fmamk_f16 v142, v56, 0x3b9c, v60
	v_fmac_f16_e32 v112, 0x38b4, v56
	v_fmac_f16_e32 v60, 0xbb9c, v56
	v_fma_f16 v144, -0.5, v144, v62
	v_sub_f16_e32 v106, v128, v160
	v_add_f16_e32 v5, v5, v118
	v_add_f16_e32 v56, v116, v115
	v_fmac_f16_e32 v127, 0x34f2, v78
	v_fmac_f16_e32 v142, 0xb8b4, v114
	v_fmac_f16_e32 v112, 0x34f2, v78
	v_fmac_f16_e32 v60, 0x38b4, v114
	v_fmamk_f16 v114, v106, 0x3b9c, v144
	v_sub_f16_e32 v78, v130, v131
	v_sub_f16_e32 v128, v116, v113
	;; [unrolled: 1-line block ×3, first 2 shown]
	v_fmac_f16_e32 v62, -0.5, v56
	v_add_f16_e32 v131, v5, v115
	v_fmac_f16_e32 v144, 0xbb9c, v106
	v_sub_f16_e32 v5, v113, v116
	v_sub_f16_e32 v56, v118, v115
	v_add_f16_e32 v113, v72, v107
	v_fmac_f16_e32 v142, 0x34f2, v4
	v_fmac_f16_e32 v60, 0x34f2, v4
	;; [unrolled: 1-line block ×3, first 2 shown]
	v_add_f16_e32 v4, v128, v130
	v_fmamk_f16 v128, v78, 0xbb9c, v62
	v_fmac_f16_e32 v144, 0xb8b4, v78
	v_add_f16_e32 v5, v5, v56
	v_fmac_f16_e32 v62, 0x3b9c, v78
	v_add_f16_e32 v78, v55, v73
	v_fma_f16 v56, -0.5, v113, v55
	v_sub_f16_e32 v113, v70, v110
	v_fmac_f16_e32 v114, 0x34f2, v4
	v_fmac_f16_e32 v128, 0x38b4, v106
	;; [unrolled: 1-line block ×4, first 2 shown]
	v_add_f16_e32 v78, v78, v72
	v_fmamk_f16 v4, v113, 0xbb9c, v56
	v_sub_f16_e32 v106, v71, v74
	v_sub_f16_e32 v115, v73, v72
	;; [unrolled: 1-line block ×3, first 2 shown]
	v_fmac_f16_e32 v56, 0x3b9c, v113
	v_add_f16_e32 v118, v73, v117
	v_lshrrev_b32_e32 v76, 16, v55
	v_add_f16_e32 v78, v78, v107
	v_fmac_f16_e32 v4, 0xb8b4, v106
	v_add_f16_e32 v115, v115, v116
	v_fmac_f16_e32 v56, 0x38b4, v106
	v_fmac_f16_e32 v55, -0.5, v118
	v_fmac_f16_e32 v128, 0x34f2, v5
	v_fmac_f16_e32 v62, 0x34f2, v5
	v_add_f16_e32 v116, v78, v117
	v_fmac_f16_e32 v4, 0x34f2, v115
	v_fmac_f16_e32 v56, 0x34f2, v115
	v_fmamk_f16 v5, v106, 0x3b9c, v55
	v_add_f16_e32 v78, v71, v74
	v_sub_f16_e32 v115, v72, v73
	v_sub_f16_e32 v118, v107, v117
	v_fmac_f16_e32 v55, 0xbb9c, v106
	v_sub_f16_e32 v73, v73, v117
	v_add_f16_e32 v117, v70, v110
	v_add_f16_e32 v130, v76, v70
	v_fma_f16 v106, -0.5, v78, v76
	v_fmac_f16_e32 v5, 0xb8b4, v113
	v_add_f16_e32 v115, v115, v118
	v_fmac_f16_e32 v55, 0x38b4, v113
	v_sub_f16_e32 v72, v72, v107
	v_fmac_f16_e32 v76, -0.5, v117
	v_add_f16_e32 v113, v130, v71
	v_fmac_f16_e32 v5, 0x34f2, v115
	v_fmac_f16_e32 v55, 0x34f2, v115
	v_sub_f16_e32 v115, v70, v71
	v_fmamk_f16 v107, v72, 0xbb9c, v76
	v_sub_f16_e32 v70, v71, v70
	v_sub_f16_e32 v71, v74, v110
	v_fmac_f16_e32 v76, 0x3b9c, v72
	v_fmamk_f16 v78, v73, 0x3b9c, v106
	v_fmac_f16_e32 v107, 0x38b4, v73
	v_sub_f16_e32 v117, v110, v74
	v_add_f16_e32 v70, v70, v71
	v_fmac_f16_e32 v76, 0xb8b4, v73
	v_fmac_f16_e32 v106, 0xbb9c, v73
	v_pack_b32_f16 v7, v7, v133
	v_pack_b32_f16 v6, v6, v119
	v_fmac_f16_e32 v107, 0x34f2, v70
	v_fmac_f16_e32 v76, 0x34f2, v70
	v_pack_b32_f16 v70, v108, v135
	v_pack_b32_f16 v57, v57, v68
	v_add_f16_e32 v113, v113, v74
	v_fmac_f16_e32 v78, 0x38b4, v72
	v_add_f16_e32 v74, v115, v117
	v_pack_b32_f16 v68, v69, v122
	v_fmac_f16_e32 v106, 0xb8b4, v72
	v_pack_b32_f16 v69, v134, v140
	v_pack_b32_f16 v72, v121, v132
	;; [unrolled: 1-line block ×4, first 2 shown]
	ds_write2_b32 v149, v7, v6 offset1:8
	ds_write2_b32 v149, v70, v57 offset0:16 offset1:24
	ds_write_b32 v149, v68 offset:128
	ds_write2_b32 v150, v69, v72 offset1:8
	ds_write2_b32 v150, v73, v58 offset0:16 offset1:24
	v_pack_b32_f16 v6, v120, v137
	v_pack_b32_f16 v7, v125, v143
	;; [unrolled: 1-line block ×3, first 2 shown]
	v_add_f16_e32 v71, v113, v110
	v_fmac_f16_e32 v78, 0x34f2, v74
	v_pack_b32_f16 v58, v126, v141
	v_pack_b32_f16 v59, v59, v67
	;; [unrolled: 1-line block ×3, first 2 shown]
	v_fmac_f16_e32 v106, 0x34f2, v74
	v_pack_b32_f16 v67, v129, v131
	v_pack_b32_f16 v68, v127, v114
	ds_write_b32 v150, v6 offset:128
	ds_write2_b32 v151, v7, v57 offset1:8
	ds_write2_b32 v151, v58, v59 offset0:16 offset1:24
	ds_write_b32 v151, v66 offset:128
	ds_write2_b32 v152, v67, v68 offset1:8
	v_pack_b32_f16 v6, v142, v128
	v_pack_b32_f16 v7, v60, v62
	;; [unrolled: 1-line block ×8, first 2 shown]
	ds_write2_b32 v152, v6, v7 offset0:16 offset1:24
	ds_write_b32 v152, v57 offset:128
	ds_write2_b32 v153, v58, v59 offset1:8
	ds_write2_b32 v153, v60, v62 offset0:16 offset1:24
	ds_write_b32 v153, v66 offset:128
	s_waitcnt lgkmcnt(0)
	s_barrier
	buffer_gl0_inv
	ds_read2_b32 v[57:58], v79 offset1:56
	ds_read2_b32 v[6:7], v79 offset0:112 offset1:200
	ds_read2_b32 v[73:74], v65 offset0:144 offset1:200
	ds_read2_b32 v[59:60], v63 offset1:88
	ds_read2_b32 v[71:72], v61 offset0:32 offset1:88
	ds_read2_b32 v[61:62], v61 offset0:144 offset1:232
	;; [unrolled: 1-line block ×3, first 2 shown]
	ds_read2_b32 v[69:70], v65 offset1:56
	ds_read2_b32 v[65:66], v63 offset0:144 offset1:200
	ds_read2_b32 v[63:64], v64 offset0:32 offset1:88
	ds_read_b32 v108, v79 offset:5248
	s_and_saveexec_b32 s1, s0
	s_cbranch_execz .LBB0_35
; %bb.34:
	v_add_nc_u32_e32 v53, 0x880, v79
	v_add_nc_u32_e32 v54, 0xf00, v79
	ds_read2_b32 v[4:5], v77 offset0:40 offset1:240
	ds_read2_b32 v[55:56], v53 offset0:24 offset1:224
	;; [unrolled: 1-line block ×3, first 2 shown]
	ds_read_b32 v155, v79 offset:5472
	s_waitcnt lgkmcnt(3)
	v_lshrrev_b32_e32 v78, 16, v4
	v_lshrrev_b32_e32 v107, 16, v5
	s_waitcnt lgkmcnt(2)
	v_lshrrev_b32_e32 v76, 16, v55
	v_lshrrev_b32_e32 v106, 16, v56
	;; [unrolled: 3-line block ×3, first 2 shown]
	s_waitcnt lgkmcnt(0)
	v_lshrrev_b32_e32 v156, 16, v155
.LBB0_35:
	s_or_b32 exec_lo, exec_lo, s1
	s_waitcnt lgkmcnt(9)
	v_lshrrev_b32_e32 v77, 16, v7
	s_waitcnt lgkmcnt(8)
	v_lshrrev_b32_e32 v110, 16, v73
	;; [unrolled: 2-line block ×5, first 2 shown]
	v_mul_f16_sdwa v123, v8, v77 dst_sel:DWORD dst_unused:UNUSED_PAD src0_sel:WORD_1 src1_sel:DWORD
	s_waitcnt lgkmcnt(4)
	v_lshrrev_b32_e32 v114, 16, v67
	v_mul_f16_sdwa v128, v9, v110 dst_sel:DWORD dst_unused:UNUSED_PAD src0_sel:WORD_1 src1_sel:DWORD
	v_mul_f16_sdwa v129, v9, v73 dst_sel:DWORD dst_unused:UNUSED_PAD src0_sel:WORD_1 src1_sel:DWORD
	;; [unrolled: 1-line block ×3, first 2 shown]
	v_fmac_f16_e32 v123, v8, v7
	v_mul_f16_sdwa v7, v8, v7 dst_sel:DWORD dst_unused:UNUSED_PAD src0_sel:WORD_1 src1_sel:DWORD
	v_mul_f16_sdwa v131, v10, v60 dst_sel:DWORD dst_unused:UNUSED_PAD src0_sel:WORD_1 src1_sel:DWORD
	s_waitcnt lgkmcnt(3)
	v_lshrrev_b32_e32 v115, 16, v69
	v_lshrrev_b32_e32 v116, 16, v74
	v_fmac_f16_e32 v128, v9, v73
	v_fma_f16 v7, v8, v77, -v7
	v_fma_f16 v8, v9, v110, -v129
	v_fmac_f16_e32 v130, v10, v60
	v_fma_f16 v9, v10, v111, -v131
	v_mul_f16_sdwa v10, v11, v112 dst_sel:DWORD dst_unused:UNUSED_PAD src0_sel:WORD_1 src1_sel:DWORD
	v_mul_f16_sdwa v60, v11, v71 dst_sel:DWORD dst_unused:UNUSED_PAD src0_sel:WORD_1 src1_sel:DWORD
	;; [unrolled: 1-line block ×5, first 2 shown]
	s_waitcnt lgkmcnt(2)
	v_lshrrev_b32_e32 v117, 16, v65
	v_lshrrev_b32_e32 v118, 16, v72
	s_waitcnt lgkmcnt(1)
	v_lshrrev_b32_e32 v119, 16, v63
	v_fmac_f16_e32 v10, v11, v71
	v_fma_f16 v11, v11, v112, -v60
	v_fmac_f16_e32 v73, v47, v62
	v_fma_f16 v47, v47, v113, -v77
	v_fmac_f16_e32 v110, v48, v67
	v_mul_f16_sdwa v60, v48, v67 dst_sel:DWORD dst_unused:UNUSED_PAD src0_sel:WORD_1 src1_sel:DWORD
	v_mul_f16_sdwa v62, v16, v115 dst_sel:DWORD dst_unused:UNUSED_PAD src0_sel:WORD_1 src1_sel:DWORD
	;; [unrolled: 1-line block ×5, first 2 shown]
	v_lshrrev_b32_e32 v120, 16, v68
	v_lshrrev_b32_e32 v121, 16, v70
	v_fma_f16 v48, v48, v114, -v60
	v_fmac_f16_e32 v62, v16, v69
	v_fma_f16 v16, v16, v115, -v67
	v_fmac_f16_e32 v71, v17, v74
	v_fma_f16 v17, v17, v116, -v77
	v_mul_f16_sdwa v60, v18, v117 dst_sel:DWORD dst_unused:UNUSED_PAD src0_sel:WORD_1 src1_sel:DWORD
	v_mul_f16_sdwa v67, v18, v65 dst_sel:DWORD dst_unused:UNUSED_PAD src0_sel:WORD_1 src1_sel:DWORD
	;; [unrolled: 1-line block ×5, first 2 shown]
	v_lshrrev_b32_e32 v122, 16, v59
	v_lshrrev_b32_e32 v124, 16, v66
	;; [unrolled: 1-line block ×3, first 2 shown]
	v_fmac_f16_e32 v60, v18, v65
	v_fma_f16 v18, v18, v117, -v67
	v_fmac_f16_e32 v69, v19, v72
	v_fma_f16 v19, v19, v118, -v74
	v_fmac_f16_e32 v77, v51, v63
	v_mul_f16_sdwa v63, v51, v63 dst_sel:DWORD dst_unused:UNUSED_PAD src0_sel:WORD_1 src1_sel:DWORD
	v_mul_f16_sdwa v65, v52, v120 dst_sel:DWORD dst_unused:UNUSED_PAD src0_sel:WORD_1 src1_sel:DWORD
	v_mul_f16_sdwa v67, v52, v68 dst_sel:DWORD dst_unused:UNUSED_PAD src0_sel:WORD_1 src1_sel:DWORD
	v_mul_f16_sdwa v72, v12, v121 dst_sel:DWORD dst_unused:UNUSED_PAD src0_sel:WORD_1 src1_sel:DWORD
	v_mul_f16_sdwa v74, v12, v70 dst_sel:DWORD dst_unused:UNUSED_PAD src0_sel:WORD_1 src1_sel:DWORD
	v_lshrrev_b32_e32 v126, 16, v64
	s_waitcnt lgkmcnt(0)
	v_lshrrev_b32_e32 v127, 16, v108
	v_fma_f16 v51, v51, v119, -v63
	v_fmac_f16_e32 v65, v52, v68
	v_fma_f16 v52, v52, v120, -v67
	v_fmac_f16_e32 v72, v12, v70
	v_fma_f16 v12, v12, v121, -v74
	v_mul_f16_sdwa v63, v13, v122 dst_sel:DWORD dst_unused:UNUSED_PAD src0_sel:WORD_1 src1_sel:DWORD
	v_mul_f16_sdwa v67, v13, v59 dst_sel:DWORD dst_unused:UNUSED_PAD src0_sel:WORD_1 src1_sel:DWORD
	;; [unrolled: 1-line block ×5, first 2 shown]
	v_fmac_f16_e32 v63, v13, v59
	v_fma_f16 v13, v13, v122, -v67
	v_fmac_f16_e32 v68, v14, v66
	v_fma_f16 v14, v14, v124, -v70
	v_fmac_f16_e32 v74, v15, v61
	v_mul_f16_sdwa v59, v15, v61 dst_sel:DWORD dst_unused:UNUSED_PAD src0_sel:WORD_1 src1_sel:DWORD
	v_mul_f16_sdwa v61, v49, v126 dst_sel:DWORD dst_unused:UNUSED_PAD src0_sel:WORD_1 src1_sel:DWORD
	;; [unrolled: 1-line block ×5, first 2 shown]
	v_fma_f16 v15, v15, v125, -v59
	v_fmac_f16_e32 v61, v49, v64
	v_fmac_f16_e32 v67, v50, v108
	v_fma_f16 v50, v50, v127, -v70
	v_add_f16_e32 v59, v123, v110
	v_add_f16_e32 v64, v7, v48
	v_sub_f16_e32 v7, v7, v48
	v_add_f16_e32 v48, v128, v73
	v_add_f16_e32 v70, v8, v47
	v_fma_f16 v49, v49, v126, -v66
	v_sub_f16_e32 v66, v123, v110
	v_sub_f16_e32 v73, v128, v73
	;; [unrolled: 1-line block ×3, first 2 shown]
	v_add_f16_e32 v47, v130, v10
	v_add_f16_e32 v108, v9, v11
	v_sub_f16_e32 v10, v10, v130
	v_sub_f16_e32 v9, v11, v9
	v_add_f16_e32 v11, v48, v59
	v_add_f16_e32 v110, v70, v64
	v_sub_f16_e32 v111, v48, v59
	v_sub_f16_e32 v112, v70, v64
	;; [unrolled: 1-line block ×6, first 2 shown]
	v_add_f16_e32 v113, v10, v73
	v_add_f16_e32 v114, v9, v8
	v_sub_f16_e32 v115, v10, v73
	v_sub_f16_e32 v116, v9, v8
	;; [unrolled: 1-line block ×3, first 2 shown]
	v_add_f16_e32 v11, v47, v11
	v_add_f16_e32 v47, v108, v110
	v_sub_f16_e32 v8, v8, v7
	v_sub_f16_e32 v10, v66, v10
	;; [unrolled: 1-line block ×3, first 2 shown]
	v_add_f16_e32 v66, v113, v66
	v_add_f16_e32 v7, v114, v7
	;; [unrolled: 1-line block ×3, first 2 shown]
	v_add_f16_sdwa v57, v57, v47 dst_sel:DWORD dst_unused:UNUSED_PAD src0_sel:WORD_1 src1_sel:DWORD
	v_mul_f16_e32 v59, 0x3a52, v59
	v_mul_f16_e32 v64, 0x3a52, v64
	;; [unrolled: 1-line block ×8, first 2 shown]
	v_fmamk_f16 v11, v11, 0xbcab, v108
	v_fmamk_f16 v47, v47, 0xbcab, v57
	v_fmamk_f16 v48, v48, 0x2b26, v59
	v_fmamk_f16 v70, v70, 0x2b26, v64
	v_fma_f16 v110, v111, 0x39e0, -v110
	v_fma_f16 v113, v112, 0x39e0, -v113
	;; [unrolled: 1-line block ×4, first 2 shown]
	v_fmamk_f16 v111, v10, 0xb574, v114
	v_fmamk_f16 v112, v9, 0xb574, v115
	v_fma_f16 v10, v10, 0x3574, -v116
	v_fma_f16 v9, v9, 0x3574, -v117
	;; [unrolled: 1-line block ×4, first 2 shown]
	v_add_f16_e32 v48, v48, v11
	v_add_f16_e32 v70, v70, v47
	v_add_f16_e32 v110, v110, v11
	v_add_f16_e32 v113, v113, v47
	v_add_f16_e32 v11, v59, v11
	v_add_f16_e32 v47, v64, v47
	v_fmac_f16_e32 v111, 0xb70e, v66
	v_fmac_f16_e32 v112, 0xb70e, v7
	;; [unrolled: 1-line block ×6, first 2 shown]
	v_add_f16_e32 v7, v112, v48
	v_sub_f16_e32 v59, v70, v111
	v_add_f16_e32 v64, v9, v11
	v_sub_f16_e32 v66, v47, v10
	v_sub_f16_e32 v9, v11, v9
	v_add_f16_e32 v10, v10, v47
	v_sub_f16_e32 v11, v48, v112
	v_add_f16_e32 v47, v111, v70
	v_add_f16_e32 v48, v62, v65
	v_add_f16_e32 v70, v16, v52
	v_sub_f16_e32 v62, v62, v65
	v_sub_f16_e32 v16, v16, v52
	v_add_f16_e32 v52, v71, v77
	v_add_f16_e32 v65, v17, v51
	v_sub_f16_e32 v71, v71, v77
	v_sub_f16_e32 v17, v17, v51
	v_add_f16_e32 v51, v60, v69
	v_add_f16_e32 v77, v18, v19
	;; [unrolled: 4-line block ×3, first 2 shown]
	v_sub_f16_e32 v114, v110, v8
	v_add_f16_e32 v115, v73, v113
	v_add_f16_e32 v8, v8, v110
	v_sub_f16_e32 v73, v113, v73
	v_sub_f16_e32 v110, v52, v48
	;; [unrolled: 1-line block ×7, first 2 shown]
	v_add_f16_e32 v112, v60, v71
	v_add_f16_e32 v113, v18, v17
	v_sub_f16_e32 v116, v60, v71
	v_sub_f16_e32 v117, v18, v17
	;; [unrolled: 1-line block ×3, first 2 shown]
	v_add_f16_e32 v19, v51, v19
	v_add_f16_e32 v51, v77, v69
	v_sub_f16_e32 v17, v17, v16
	v_sub_f16_e32 v60, v62, v60
	;; [unrolled: 1-line block ×3, first 2 shown]
	v_add_f16_e32 v62, v112, v62
	v_add_f16_e32 v16, v113, v16
	;; [unrolled: 1-line block ×3, first 2 shown]
	v_add_f16_sdwa v58, v58, v51 dst_sel:DWORD dst_unused:UNUSED_PAD src0_sel:WORD_1 src1_sel:DWORD
	v_mul_f16_e32 v48, 0x3a52, v48
	v_mul_f16_e32 v70, 0x3a52, v70
	;; [unrolled: 1-line block ×8, first 2 shown]
	v_fmamk_f16 v19, v19, 0xbcab, v69
	v_fmamk_f16 v51, v51, 0xbcab, v58
	;; [unrolled: 1-line block ×4, first 2 shown]
	v_fma_f16 v77, v110, 0x39e0, -v77
	v_fma_f16 v112, v111, 0x39e0, -v112
	;; [unrolled: 1-line block ×4, first 2 shown]
	v_fmamk_f16 v110, v60, 0xb574, v113
	v_fmamk_f16 v111, v18, 0xb574, v116
	v_fma_f16 v60, v60, 0x3574, -v117
	v_fma_f16 v18, v18, 0x3574, -v118
	;; [unrolled: 1-line block ×4, first 2 shown]
	v_add_f16_e32 v52, v52, v19
	v_add_f16_e32 v65, v65, v51
	;; [unrolled: 1-line block ×5, first 2 shown]
	v_fmac_f16_e32 v110, 0xb70e, v62
	v_fmac_f16_e32 v111, 0xb70e, v16
	;; [unrolled: 1-line block ×4, first 2 shown]
	v_add_f16_e32 v112, v112, v51
	v_fmac_f16_e32 v71, 0xb70e, v62
	v_fmac_f16_e32 v17, 0xb70e, v16
	v_add_f16_e32 v16, v111, v52
	v_sub_f16_e32 v51, v65, v110
	v_add_f16_e32 v62, v18, v19
	v_sub_f16_e32 v70, v48, v60
	v_sub_f16_e32 v18, v19, v18
	v_add_f16_e32 v19, v60, v48
	v_sub_f16_e32 v48, v52, v111
	v_add_f16_e32 v52, v110, v65
	v_add_f16_e32 v60, v72, v67
	;; [unrolled: 1-line block ×3, first 2 shown]
	v_sub_f16_e32 v67, v72, v67
	v_sub_f16_e32 v12, v12, v50
	v_add_f16_e32 v50, v63, v61
	v_add_f16_e32 v72, v13, v49
	v_sub_f16_e32 v61, v63, v61
	v_sub_f16_e32 v13, v13, v49
	v_add_f16_e32 v49, v68, v74
	v_add_f16_e32 v63, v14, v15
	v_sub_f16_e32 v68, v74, v68
	v_sub_f16_e32 v14, v15, v14
	v_add_f16_e32 v15, v50, v60
	v_add_f16_e32 v74, v72, v65
	v_sub_f16_e32 v113, v77, v17
	v_add_f16_e32 v116, v71, v112
	v_add_f16_e32 v17, v17, v77
	v_sub_f16_e32 v71, v112, v71
	v_sub_f16_e32 v77, v50, v60
	;; [unrolled: 1-line block ×7, first 2 shown]
	v_add_f16_e32 v111, v68, v61
	v_add_f16_e32 v112, v14, v13
	v_sub_f16_e32 v117, v68, v61
	v_sub_f16_e32 v118, v14, v13
	v_add_f16_e32 v15, v49, v15
	v_add_f16_e32 v49, v63, v74
	v_sub_f16_e32 v61, v61, v67
	v_sub_f16_e32 v13, v13, v12
	v_sub_f16_e32 v68, v67, v68
	v_sub_f16_e32 v14, v12, v14
	v_add_f16_e32 v63, v111, v67
	v_add_f16_e32 v12, v112, v12
	;; [unrolled: 1-line block ×3, first 2 shown]
	v_add_f16_sdwa v6, v6, v49 dst_sel:DWORD dst_unused:UNUSED_PAD src0_sel:WORD_1 src1_sel:DWORD
	v_mul_f16_e32 v60, 0x3a52, v60
	v_mul_f16_e32 v65, 0x3a52, v65
	;; [unrolled: 1-line block ×8, first 2 shown]
	v_fmamk_f16 v15, v15, 0xbcab, v67
	v_fmamk_f16 v49, v49, 0xbcab, v6
	;; [unrolled: 1-line block ×4, first 2 shown]
	v_fma_f16 v74, v77, 0x39e0, -v74
	v_fma_f16 v111, v110, 0x39e0, -v111
	;; [unrolled: 1-line block ×4, first 2 shown]
	v_fmamk_f16 v77, v68, 0xb574, v112
	v_fmamk_f16 v110, v14, 0xb574, v117
	v_fma_f16 v61, v61, 0xbb00, -v112
	v_fma_f16 v13, v13, 0xbb00, -v117
	;; [unrolled: 1-line block ×4, first 2 shown]
	v_pack_b32_f16 v57, v108, v57
	v_pack_b32_f16 v7, v7, v59
	v_add_f16_e32 v50, v50, v15
	v_add_f16_e32 v72, v72, v49
	v_fmac_f16_e32 v77, 0xb70e, v63
	v_fmac_f16_e32 v110, 0xb70e, v12
	v_pack_b32_f16 v59, v64, v66
	v_pack_b32_f16 v64, v114, v115
	v_add_f16_e32 v74, v74, v15
	v_add_f16_e32 v111, v111, v49
	;; [unrolled: 1-line block ×4, first 2 shown]
	v_fmac_f16_e32 v61, 0xb70e, v63
	v_fmac_f16_e32 v14, 0xb70e, v12
	;; [unrolled: 1-line block ×4, first 2 shown]
	s_barrier
	buffer_gl0_inv
	ds_write2_b32 v157, v57, v7 offset1:40
	ds_write2_b32 v157, v59, v64 offset0:80 offset1:120
	v_pack_b32_f16 v7, v8, v73
	v_pack_b32_f16 v8, v9, v10
	v_add_f16_e32 v12, v110, v50
	v_sub_f16_e32 v60, v72, v77
	v_pack_b32_f16 v9, v11, v47
	v_add_f16_e32 v63, v14, v15
	v_sub_f16_e32 v65, v49, v68
	v_sub_f16_e32 v112, v74, v13
	v_add_f16_e32 v117, v61, v111
	v_pack_b32_f16 v10, v69, v58
	v_pack_b32_f16 v11, v16, v51
	v_add_f16_e32 v13, v13, v74
	v_sub_f16_e32 v61, v111, v61
	v_sub_f16_e32 v14, v15, v14
	v_add_f16_e32 v15, v68, v49
	v_pack_b32_f16 v16, v62, v70
	v_pack_b32_f16 v47, v113, v116
	v_sub_f16_e32 v49, v50, v110
	v_add_f16_e32 v50, v77, v72
	v_pack_b32_f16 v17, v17, v71
	v_pack_b32_f16 v18, v18, v19
	ds_write2_b32 v157, v7, v8 offset0:160 offset1:200
	ds_write_b32 v157, v9 offset:960
	ds_write2_b32 v158, v10, v11 offset1:40
	ds_write2_b32 v158, v16, v47 offset0:80 offset1:120
	ds_write2_b32 v158, v17, v18 offset0:160 offset1:200
	v_pack_b32_f16 v7, v48, v52
	v_pack_b32_f16 v6, v67, v6
	;; [unrolled: 1-line block ×8, first 2 shown]
	ds_write_b32 v158, v7 offset:960
	ds_write2_b32 v159, v6, v8 offset1:40
	ds_write2_b32 v159, v9, v10 offset0:80 offset1:120
	ds_write2_b32 v159, v11, v12 offset0:160 offset1:200
	ds_write_b32 v159, v13 offset:960
	s_and_saveexec_b32 s1, s0
	s_cbranch_execz .LBB0_37
; %bb.36:
	v_mul_f16_sdwa v6, v0, v107 dst_sel:DWORD dst_unused:UNUSED_PAD src0_sel:WORD_1 src1_sel:DWORD
	v_mul_f16_sdwa v9, v1, v76 dst_sel:DWORD dst_unused:UNUSED_PAD src0_sel:WORD_1 src1_sel:DWORD
	;; [unrolled: 1-line block ×5, first 2 shown]
	v_fmac_f16_e32 v6, v0, v5
	v_mul_f16_sdwa v5, v0, v5 dst_sel:DWORD dst_unused:UNUSED_PAD src0_sel:WORD_1 src1_sel:DWORD
	v_mul_f16_sdwa v19, v1, v55 dst_sel:DWORD dst_unused:UNUSED_PAD src0_sel:WORD_1 src1_sel:DWORD
	v_mul_f16_sdwa v7, v3, v75 dst_sel:DWORD dst_unused:UNUSED_PAD src0_sel:WORD_1 src1_sel:DWORD
	v_mul_f16_sdwa v8, v2, v106 dst_sel:DWORD dst_unused:UNUSED_PAD src0_sel:WORD_1 src1_sel:DWORD
	v_mul_f16_sdwa v10, v45, v154 dst_sel:DWORD dst_unused:UNUSED_PAD src0_sel:WORD_1 src1_sel:DWORD
	v_fmac_f16_e32 v9, v1, v55
	v_fmac_f16_e32 v11, v46, v155
	v_fma_f16 v14, v46, v156, -v14
	v_fma_f16 v0, v0, v107, -v5
	v_mul_f16_sdwa v5, v2, v56 dst_sel:DWORD dst_unused:UNUSED_PAD src0_sel:WORD_1 src1_sel:DWORD
	v_mul_f16_sdwa v46, v3, v53 dst_sel:DWORD dst_unused:UNUSED_PAD src0_sel:WORD_1 src1_sel:DWORD
	v_fma_f16 v18, v45, v154, -v18
	v_fma_f16 v1, v1, v76, -v19
	v_fmac_f16_e32 v7, v3, v53
	v_fmac_f16_e32 v8, v2, v56
	;; [unrolled: 1-line block ×3, first 2 shown]
	v_add_f16_e32 v19, v14, v0
	v_fma_f16 v2, v2, v106, -v5
	v_fma_f16 v3, v3, v75, -v46
	v_add_f16_e32 v5, v18, v1
	v_sub_f16_e32 v13, v9, v10
	v_sub_f16_e32 v15, v6, v11
	v_add_f16_e32 v6, v11, v6
	v_add_f16_e32 v46, v3, v2
	;; [unrolled: 1-line block ×4, first 2 shown]
	v_sub_f16_e32 v12, v7, v8
	v_add_f16_e32 v7, v7, v8
	v_sub_f16_e32 v48, v19, v46
	v_add_f16_e32 v47, v46, v47
	;; [unrolled: 2-line block ×3, first 2 shown]
	v_sub_f16_e32 v49, v6, v7
	v_sub_f16_e32 v2, v3, v2
	;; [unrolled: 1-line block ×4, first 2 shown]
	v_add_f16_e32 v46, v7, v46
	v_sub_f16_e32 v16, v12, v13
	v_sub_f16_e32 v17, v15, v12
	v_add_f16_e32 v12, v12, v13
	v_mul_f16_e32 v3, 0x3a52, v49
	v_sub_f16_e32 v7, v7, v9
	v_add_f16_e32 v4, v4, v46
	v_sub_f16_e32 v14, v2, v1
	v_sub_f16_e32 v13, v13, v15
	v_mul_f16_e32 v11, 0x3a52, v48
	v_sub_f16_e32 v49, v0, v2
	v_add_f16_e32 v2, v2, v1
	v_sub_f16_e32 v5, v5, v19
	v_sub_f16_e32 v1, v1, v0
	v_mul_f16_e32 v16, 0x3846, v16
	v_add_f16_e32 v8, v78, v47
	v_mul_f16_e32 v48, 0x2b26, v10
	v_fmamk_f16 v18, v7, 0x2b26, v3
	v_fmamk_f16 v46, v46, 0xbcab, v4
	v_mul_f16_e32 v14, 0x3846, v14
	v_mul_f16_e32 v51, 0xbb00, v13
	v_fmamk_f16 v10, v10, 0x2b26, v11
	v_mul_f16_e32 v7, 0x2b26, v7
	v_sub_f16_e32 v6, v9, v6
	v_fma_f16 v9, v5, 0xb9e0, -v11
	v_mul_f16_e32 v11, 0xbb00, v1
	v_fmamk_f16 v45, v17, 0xb574, v16
	v_add_f16_e32 v12, v12, v15
	v_fmamk_f16 v47, v47, 0xbcab, v8
	v_add_f16_e32 v15, v18, v46
	;; [unrolled: 2-line block ×3, first 2 shown]
	v_fma_f16 v2, v17, 0x3574, -v51
	v_fma_f16 v5, v5, 0x39e0, -v48
	v_fma_f16 v13, v13, 0xbb00, -v16
	v_fma_f16 v3, v6, 0xb9e0, -v3
	v_fma_f16 v11, v49, 0x3574, -v11
	v_fma_f16 v1, v1, 0xbb00, -v14
	v_fma_f16 v6, v6, 0x39e0, -v7
	v_fmac_f16_e32 v45, 0xb70e, v12
	v_add_f16_e32 v10, v10, v47
	v_fmac_f16_e32 v18, 0xb70e, v0
	v_fmac_f16_e32 v2, 0xb70e, v12
	v_add_f16_e32 v9, v9, v47
	v_add_f16_e32 v5, v5, v47
	v_fmac_f16_e32 v13, 0xb70e, v12
	v_mov_b32_e32 v17, 2
	v_add_f16_e32 v3, v3, v46
	v_fmac_f16_e32 v11, 0xb70e, v0
	v_fmac_f16_e32 v1, 0xb70e, v0
	v_add_f16_e32 v0, v6, v46
	v_add_f16_e32 v50, v45, v10
	;; [unrolled: 1-line block ×3, first 2 shown]
	v_sub_f16_e32 v14, v5, v13
	v_add_f16_e32 v5, v13, v5
	v_sub_f16_e32 v2, v9, v2
	v_sub_f16_e32 v9, v10, v45
	v_add_f16_e32 v10, v18, v15
	v_lshlrev_b32_sdwa v13, v17, v109 dst_sel:DWORD dst_unused:UNUSED_PAD src0_sel:DWORD src1_sel:BYTE_0
	v_sub_f16_e32 v12, v3, v11
	v_add_f16_e32 v16, v1, v0
	v_add_f16_e32 v3, v11, v3
	v_sub_f16_e32 v0, v0, v1
	v_sub_f16_e32 v6, v15, v18
	v_pack_b32_f16 v1, v4, v8
	v_pack_b32_f16 v4, v10, v9
	v_add_nc_u32_e32 v8, 0x1000, v13
	v_pack_b32_f16 v2, v3, v2
	v_pack_b32_f16 v0, v0, v5
	;; [unrolled: 1-line block ×4, first 2 shown]
	v_add_nc_u32_e32 v7, 0x1400, v13
	v_pack_b32_f16 v6, v6, v50
	ds_write2_b32 v8, v1, v4 offset0:96 offset1:136
	ds_write2_b32 v8, v2, v0 offset0:176 offset1:216
	ds_write2_b32 v7, v3, v5 offset1:40
	ds_write_b32 v13, v6 offset:5440
.LBB0_37:
	s_or_b32 exec_lo, exec_lo, s1
	v_add_nc_u32_e32 v11, 0x200, v79
	v_add_nc_u32_e32 v7, 0x800, v79
	s_waitcnt lgkmcnt(0)
	s_barrier
	buffer_gl0_inv
	ds_read2_b32 v[2:3], v79 offset1:56
	ds_read2_b32 v[0:1], v11 offset0:96 offset1:152
	ds_read2_b32 v[17:18], v7 offset0:48 offset1:104
	v_add_nc_u32_e32 v10, 0xc00, v79
	v_add_nc_u32_e32 v8, 0x1000, v79
	;; [unrolled: 1-line block ×3, first 2 shown]
	ds_read2_b32 v[45:46], v10 offset0:16 offset1:72
	ds_read2_b32 v[47:48], v8 offset0:96 offset1:152
	;; [unrolled: 1-line block ×6, first 2 shown]
	v_add_nc_u32_e32 v6, 0x1200, v79
	v_add_nc_u32_e32 v12, 0xe00, v79
	ds_read2_b32 v[55:56], v6 offset0:80 offset1:136
	ds_read2_b32 v[57:58], v9 offset0:192 offset1:248
	;; [unrolled: 1-line block ×3, first 2 shown]
	ds_read_b32 v64, v79 offset:5376
	s_mov_b32 s4, 0xe434a9b1
	s_mov_b32 s5, 0x3f4767dc
	s_waitcnt lgkmcnt(12)
	v_lshrrev_b32_e32 v15, 16, v2
	s_waitcnt lgkmcnt(11)
	v_lshrrev_b32_e32 v19, 16, v1
	;; [unrolled: 2-line block ×3, first 2 shown]
	v_mul_f16_sdwa v110, v21, v17 dst_sel:DWORD dst_unused:UNUSED_PAD src0_sel:WORD_1 src1_sel:DWORD
	s_waitcnt lgkmcnt(9)
	v_lshrrev_b32_e32 v62, 16, v46
	s_waitcnt lgkmcnt(8)
	v_lshrrev_b32_e32 v63, 16, v47
	v_mul_f16_sdwa v77, v20, v19 dst_sel:DWORD dst_unused:UNUSED_PAD src0_sel:WORD_1 src1_sel:DWORD
	s_waitcnt lgkmcnt(7)
	v_lshrrev_b32_e32 v65, 16, v49
	v_mul_f16_sdwa v109, v21, v61 dst_sel:DWORD dst_unused:UNUSED_PAD src0_sel:WORD_1 src1_sel:DWORD
	v_mul_f16_sdwa v111, v22, v62 dst_sel:DWORD dst_unused:UNUSED_PAD src0_sel:WORD_1 src1_sel:DWORD
	;; [unrolled: 1-line block ×3, first 2 shown]
	v_fmac_f16_e32 v77, v20, v1
	v_mul_f16_sdwa v1, v20, v1 dst_sel:DWORD dst_unused:UNUSED_PAD src0_sel:WORD_1 src1_sel:DWORD
	v_lshrrev_b32_e32 v66, 16, v18
	v_lshrrev_b32_e32 v68, 16, v48
	v_fmac_f16_e32 v109, v21, v17
	v_fma_f16 v61, v21, v61, -v110
	v_fma_f16 v113, v20, v19, -v1
	v_fmac_f16_e32 v111, v22, v46
	v_fma_f16 v46, v22, v62, -v112
	v_mul_f16_sdwa v62, v23, v63 dst_sel:DWORD dst_unused:UNUSED_PAD src0_sel:WORD_1 src1_sel:DWORD
	v_mul_f16_sdwa v1, v23, v47 dst_sel:DWORD dst_unused:UNUSED_PAD src0_sel:WORD_1 src1_sel:DWORD
	;; [unrolled: 1-line block ×4, first 2 shown]
	s_waitcnt lgkmcnt(6)
	v_lshrrev_b32_e32 v67, 16, v51
	v_lshrrev_b32_e32 v69, 16, v50
	v_mul_f16_sdwa v112, v25, v66 dst_sel:DWORD dst_unused:UNUSED_PAD src0_sel:WORD_1 src1_sel:DWORD
	v_fmac_f16_e32 v62, v23, v47
	v_fma_f16 v47, v23, v63, -v1
	v_fmac_f16_e32 v110, v24, v49
	v_fma_f16 v49, v24, v65, -v17
	v_mul_f16_sdwa v1, v25, v18 dst_sel:DWORD dst_unused:UNUSED_PAD src0_sel:WORD_1 src1_sel:DWORD
	v_mul_f16_sdwa v65, v27, v68 dst_sel:DWORD dst_unused:UNUSED_PAD src0_sel:WORD_1 src1_sel:DWORD
	s_waitcnt lgkmcnt(4)
	v_lshrrev_b32_e32 v70, 16, v53
	v_lshrrev_b32_e32 v71, 16, v52
	v_fmac_f16_e32 v112, v25, v18
	v_mul_f16_sdwa v63, v26, v67 dst_sel:DWORD dst_unused:UNUSED_PAD src0_sel:WORD_1 src1_sel:DWORD
	v_mul_f16_sdwa v17, v26, v51 dst_sel:DWORD dst_unused:UNUSED_PAD src0_sel:WORD_1 src1_sel:DWORD
	;; [unrolled: 1-line block ×3, first 2 shown]
	v_fma_f16 v66, v25, v66, -v1
	v_fmac_f16_e32 v65, v27, v48
	v_mul_f16_sdwa v48, v32, v69 dst_sel:DWORD dst_unused:UNUSED_PAD src0_sel:WORD_1 src1_sel:DWORD
	v_mul_f16_sdwa v1, v32, v50 dst_sel:DWORD dst_unused:UNUSED_PAD src0_sel:WORD_1 src1_sel:DWORD
	s_waitcnt lgkmcnt(2)
	v_lshrrev_b32_e32 v73, 16, v57
	v_lshrrev_b32_e32 v74, 16, v54
	v_fmac_f16_e32 v63, v26, v51
	v_fma_f16 v51, v26, v67, -v17
	v_fma_f16 v27, v27, v68, -v18
	v_mul_f16_sdwa v67, v33, v70 dst_sel:DWORD dst_unused:UNUSED_PAD src0_sel:WORD_1 src1_sel:DWORD
	v_mul_f16_sdwa v68, v34, v71 dst_sel:DWORD dst_unused:UNUSED_PAD src0_sel:WORD_1 src1_sel:DWORD
	v_fmac_f16_e32 v48, v32, v50
	v_fma_f16 v32, v32, v69, -v1
	v_mul_f16_sdwa v1, v34, v52 dst_sel:DWORD dst_unused:UNUSED_PAD src0_sel:WORD_1 src1_sel:DWORD
	v_lshrrev_b32_e32 v72, 16, v55
	v_lshrrev_b32_e32 v76, 16, v56
	v_mul_f16_sdwa v17, v33, v53 dst_sel:DWORD dst_unused:UNUSED_PAD src0_sel:WORD_1 src1_sel:DWORD
	v_fmac_f16_e32 v67, v33, v53
	v_fmac_f16_e32 v68, v34, v52
	v_mul_f16_sdwa v52, v28, v73 dst_sel:DWORD dst_unused:UNUSED_PAD src0_sel:WORD_1 src1_sel:DWORD
	v_fma_f16 v34, v34, v71, -v1
	v_mul_f16_sdwa v53, v29, v74 dst_sel:DWORD dst_unused:UNUSED_PAD src0_sel:WORD_1 src1_sel:DWORD
	v_mul_f16_sdwa v1, v29, v54 dst_sel:DWORD dst_unused:UNUSED_PAD src0_sel:WORD_1 src1_sel:DWORD
	s_waitcnt lgkmcnt(1)
	v_lshrrev_b32_e32 v75, 16, v59
	v_lshrrev_b32_e32 v106, 16, v45
	v_fma_f16 v33, v33, v70, -v17
	v_mul_f16_sdwa v50, v35, v72 dst_sel:DWORD dst_unused:UNUSED_PAD src0_sel:WORD_1 src1_sel:DWORD
	v_mul_f16_sdwa v17, v35, v55 dst_sel:DWORD dst_unused:UNUSED_PAD src0_sel:WORD_1 src1_sel:DWORD
	;; [unrolled: 1-line block ×3, first 2 shown]
	v_fmac_f16_e32 v52, v28, v57
	v_mul_f16_sdwa v57, v31, v76 dst_sel:DWORD dst_unused:UNUSED_PAD src0_sel:WORD_1 src1_sel:DWORD
	v_fmac_f16_e32 v53, v29, v54
	v_fma_f16 v29, v29, v74, -v1
	v_mul_f16_sdwa v1, v31, v56 dst_sel:DWORD dst_unused:UNUSED_PAD src0_sel:WORD_1 src1_sel:DWORD
	v_lshrrev_b32_e32 v78, 16, v58
	v_lshrrev_b32_e32 v107, 16, v60
	v_fmac_f16_e32 v50, v35, v55
	v_fma_f16 v35, v35, v72, -v17
	v_fma_f16 v28, v28, v73, -v18
	v_mul_f16_sdwa v55, v30, v75 dst_sel:DWORD dst_unused:UNUSED_PAD src0_sel:WORD_1 src1_sel:DWORD
	v_mul_f16_sdwa v17, v30, v59 dst_sel:DWORD dst_unused:UNUSED_PAD src0_sel:WORD_1 src1_sel:DWORD
	v_fmac_f16_e32 v57, v31, v56
	v_mul_f16_sdwa v19, v37, v106 dst_sel:DWORD dst_unused:UNUSED_PAD src0_sel:WORD_1 src1_sel:DWORD
	v_mul_f16_sdwa v18, v37, v45 dst_sel:DWORD dst_unused:UNUSED_PAD src0_sel:WORD_1 src1_sel:DWORD
	v_fma_f16 v31, v31, v76, -v1
	v_add_f16_e32 v1, v109, v111
	s_waitcnt lgkmcnt(0)
	v_lshrrev_b32_e32 v108, 16, v64
	v_fmac_f16_e32 v55, v30, v59
	v_fma_f16 v30, v30, v75, -v17
	v_mul_f16_sdwa v21, v36, v78 dst_sel:DWORD dst_unused:UNUSED_PAD src0_sel:WORD_1 src1_sel:DWORD
	v_mul_f16_sdwa v17, v36, v58 dst_sel:DWORD dst_unused:UNUSED_PAD src0_sel:WORD_1 src1_sel:DWORD
	v_fmac_f16_e32 v19, v37, v45
	v_fma_f16 v18, v37, v106, -v18
	v_mul_f16_sdwa v23, v38, v107 dst_sel:DWORD dst_unused:UNUSED_PAD src0_sel:WORD_1 src1_sel:DWORD
	v_mul_f16_sdwa v20, v38, v60 dst_sel:DWORD dst_unused:UNUSED_PAD src0_sel:WORD_1 src1_sel:DWORD
	v_fma_f16 v1, -0.5, v1, v2
	v_sub_f16_e32 v37, v113, v47
	v_sub_f16_e32 v25, v77, v109
	;; [unrolled: 1-line block ×3, first 2 shown]
	v_add_f16_e32 v45, v77, v62
	v_mul_f16_sdwa v54, v39, v64 dst_sel:DWORD dst_unused:UNUSED_PAD src0_sel:WORD_1 src1_sel:DWORD
	v_fmac_f16_e32 v21, v36, v58
	v_fma_f16 v17, v36, v78, -v17
	v_mul_f16_sdwa v36, v39, v108 dst_sel:DWORD dst_unused:UNUSED_PAD src0_sel:WORD_1 src1_sel:DWORD
	v_add_f16_e32 v24, v2, v77
	v_fmac_f16_e32 v23, v38, v60
	v_fma_f16 v22, v38, v107, -v20
	v_fmamk_f16 v20, v37, 0xbb9c, v1
	v_sub_f16_e32 v38, v61, v46
	v_add_f16_e32 v56, v25, v26
	v_fma_f16 v2, -0.5, v45, v2
	v_fma_f16 v26, v39, v108, -v54
	v_fmac_f16_e32 v1, 0x3b9c, v37
	v_add_f16_e32 v54, v15, v113
	v_fmac_f16_e32 v36, v39, v64
	v_fmac_f16_e32 v20, 0xb8b4, v38
	v_fmamk_f16 v25, v38, 0x3b9c, v2
	v_sub_f16_e32 v39, v109, v77
	v_sub_f16_e32 v45, v111, v62
	v_fmac_f16_e32 v1, 0x38b4, v38
	v_add_f16_e32 v58, v61, v46
	v_fmac_f16_e32 v2, 0xbb9c, v38
	v_add_f16_e32 v38, v54, v61
	v_fmac_f16_e32 v20, 0x34f2, v56
	v_fmac_f16_e32 v25, 0xb8b4, v37
	v_add_f16_e32 v39, v39, v45
	v_fma_f16 v45, -0.5, v58, v15
	v_sub_f16_e32 v54, v77, v62
	v_fmac_f16_e32 v1, 0x34f2, v56
	v_fmac_f16_e32 v2, 0x38b4, v37
	v_add_f16_e32 v37, v38, v46
	v_add_f16_e32 v56, v113, v47
	v_sub_f16_e32 v59, v113, v61
	v_sub_f16_e32 v60, v47, v46
	v_add_f16_e32 v24, v24, v109
	v_fmac_f16_e32 v25, 0x34f2, v39
	v_fmamk_f16 v38, v54, 0x3b9c, v45
	v_sub_f16_e32 v58, v109, v111
	v_fmac_f16_e32 v2, 0x34f2, v39
	v_fmac_f16_e32 v15, -0.5, v56
	v_add_f16_e32 v37, v37, v47
	v_add_f16_e32 v39, v59, v60
	v_fmac_f16_e32 v45, 0xbb9c, v54
	v_sub_f16_e32 v59, v61, v113
	v_sub_f16_e32 v46, v46, v47
	v_add_f16_e32 v47, v112, v63
	v_lshrrev_b32_e32 v14, 16, v3
	v_add_f16_e32 v24, v24, v111
	v_fmac_f16_e32 v38, 0x38b4, v58
	v_fmamk_f16 v56, v58, 0xbb9c, v15
	v_fmac_f16_e32 v45, 0xb8b4, v58
	v_add_f16_e32 v46, v59, v46
	v_add_f16_e32 v59, v3, v110
	v_fma_f16 v47, -0.5, v47, v3
	v_sub_f16_e32 v60, v49, v27
	v_fmac_f16_e32 v15, 0x3b9c, v58
	v_add_f16_e32 v64, v110, v65
	v_add_f16_e32 v24, v24, v62
	v_fmac_f16_e32 v38, 0x34f2, v39
	v_fmac_f16_e32 v56, 0x38b4, v54
	;; [unrolled: 1-line block ×3, first 2 shown]
	v_add_f16_e32 v39, v59, v112
	v_fmamk_f16 v58, v60, 0xbb9c, v47
	v_sub_f16_e32 v59, v66, v51
	v_sub_f16_e32 v61, v110, v112
	;; [unrolled: 1-line block ×3, first 2 shown]
	v_fmac_f16_e32 v15, 0xb8b4, v54
	v_fmac_f16_e32 v3, -0.5, v64
	v_fmac_f16_e32 v47, 0x3b9c, v60
	v_add_f16_e32 v64, v14, v49
	v_fmac_f16_e32 v56, 0x34f2, v46
	v_fmac_f16_e32 v58, 0xb8b4, v59
	v_add_f16_e32 v54, v61, v62
	v_fmac_f16_e32 v15, 0x34f2, v46
	v_fmamk_f16 v46, v59, 0x3b9c, v3
	v_fmac_f16_e32 v47, 0x38b4, v59
	v_fmac_f16_e32 v3, 0xbb9c, v59
	v_add_f16_e32 v59, v64, v66
	v_add_f16_e32 v39, v39, v63
	v_fmac_f16_e32 v58, 0x34f2, v54
	v_sub_f16_e32 v61, v112, v110
	v_sub_f16_e32 v62, v63, v65
	v_add_f16_e32 v69, v66, v51
	v_fmac_f16_e32 v47, 0x34f2, v54
	v_add_f16_e32 v54, v59, v51
	v_add_f16_e32 v39, v39, v65
	v_fmac_f16_e32 v46, 0xb8b4, v60
	v_add_f16_e32 v61, v61, v62
	v_fma_f16 v62, -0.5, v69, v14
	v_sub_f16_e32 v64, v110, v65
	v_fmac_f16_e32 v3, 0x38b4, v60
	v_add_f16_e32 v60, v49, v27
	v_sub_f16_e32 v65, v49, v66
	v_sub_f16_e32 v69, v27, v51
	v_add_f16_e32 v54, v54, v27
	v_sub_f16_e32 v49, v66, v49
	v_sub_f16_e32 v27, v51, v27
	v_fmamk_f16 v59, v64, 0x3b9c, v62
	v_sub_f16_e32 v63, v112, v63
	v_fmac_f16_e32 v14, -0.5, v60
	v_fmac_f16_e32 v62, 0xbb9c, v64
	v_add_f16_e32 v51, v67, v68
	v_add_f16_e32 v27, v49, v27
	;; [unrolled: 1-line block ×3, first 2 shown]
	v_fmac_f16_e32 v46, 0x34f2, v61
	v_fmac_f16_e32 v3, 0x34f2, v61
	;; [unrolled: 1-line block ×3, first 2 shown]
	v_add_f16_e32 v60, v65, v69
	v_fmamk_f16 v61, v63, 0xbb9c, v14
	v_fmac_f16_e32 v62, 0xb8b4, v63
	v_fma_f16 v51, -0.5, v51, v4
	v_sub_f16_e32 v65, v32, v35
	v_fmac_f16_e32 v14, 0x3b9c, v63
	v_add_f16_e32 v49, v49, v67
	v_add_f16_e32 v70, v48, v50
	v_lshrrev_b32_e32 v16, 16, v4
	v_fmac_f16_e32 v59, 0x34f2, v60
	v_fmac_f16_e32 v61, 0x38b4, v64
	;; [unrolled: 1-line block ×3, first 2 shown]
	v_fmamk_f16 v60, v65, 0xbb9c, v51
	v_sub_f16_e32 v63, v33, v34
	v_sub_f16_e32 v66, v48, v67
	;; [unrolled: 1-line block ×3, first 2 shown]
	v_fmac_f16_e32 v14, 0xb8b4, v64
	v_add_f16_e32 v49, v49, v68
	v_fma_f16 v4, -0.5, v70, v4
	v_fmac_f16_e32 v51, 0x3b9c, v65
	v_fmac_f16_e32 v61, 0x34f2, v27
	;; [unrolled: 1-line block ×3, first 2 shown]
	v_add_f16_e32 v64, v66, v69
	v_fmac_f16_e32 v14, 0x34f2, v27
	v_add_f16_e32 v27, v49, v50
	v_fmamk_f16 v49, v63, 0x3b9c, v4
	v_sub_f16_e32 v66, v67, v48
	v_sub_f16_e32 v69, v68, v50
	v_fmac_f16_e32 v51, 0x38b4, v63
	v_add_f16_e32 v70, v16, v32
	v_add_f16_e32 v71, v33, v34
	v_fmac_f16_e32 v4, 0xbb9c, v63
	v_fmac_f16_e32 v60, 0x34f2, v64
	;; [unrolled: 1-line block ×3, first 2 shown]
	v_add_f16_e32 v66, v66, v69
	v_add_f16_e32 v63, v70, v33
	v_fma_f16 v69, -0.5, v71, v16
	v_sub_f16_e32 v48, v48, v50
	v_fmac_f16_e32 v51, 0x34f2, v64
	v_fmac_f16_e32 v4, 0x38b4, v65
	v_add_f16_e32 v64, v32, v35
	v_sub_f16_e32 v65, v67, v68
	v_sub_f16_e32 v67, v32, v33
	v_sub_f16_e32 v32, v33, v32
	v_sub_f16_e32 v33, v34, v35
	v_add_f16_e32 v50, v63, v34
	v_fmamk_f16 v63, v48, 0x3b9c, v69
	v_sub_f16_e32 v68, v35, v34
	v_fmac_f16_e32 v16, -0.5, v64
	v_fmac_f16_e32 v69, 0xbb9c, v48
	v_add_f16_e32 v34, v53, v55
	v_add_f16_e32 v32, v32, v33
	;; [unrolled: 1-line block ×3, first 2 shown]
	v_lshrrev_b32_e32 v13, 16, v5
	v_fmac_f16_e32 v49, 0x34f2, v66
	v_fmac_f16_e32 v4, 0x34f2, v66
	v_add_f16_e32 v50, v50, v35
	v_fmac_f16_e32 v63, 0x38b4, v65
	v_add_f16_e32 v64, v67, v68
	v_fmamk_f16 v66, v65, 0xbb9c, v16
	v_fmac_f16_e32 v69, 0xb8b4, v65
	v_fma_f16 v34, -0.5, v34, v5
	v_sub_f16_e32 v35, v28, v31
	v_fmac_f16_e32 v16, 0x3b9c, v65
	v_add_f16_e32 v33, v33, v53
	v_sub_f16_e32 v67, v52, v53
	v_sub_f16_e32 v68, v57, v55
	v_add_f16_e32 v70, v52, v57
	v_fmac_f16_e32 v63, 0x34f2, v64
	v_fmac_f16_e32 v66, 0x38b4, v48
	;; [unrolled: 1-line block ×3, first 2 shown]
	v_fmamk_f16 v64, v35, 0xbb9c, v34
	v_sub_f16_e32 v65, v29, v30
	v_fmac_f16_e32 v16, 0xb8b4, v48
	v_add_f16_e32 v33, v33, v55
	v_add_f16_e32 v48, v67, v68
	v_fmac_f16_e32 v5, -0.5, v70
	v_fmac_f16_e32 v34, 0x3b9c, v35
	v_sub_f16_e32 v67, v53, v52
	v_sub_f16_e32 v68, v55, v57
	v_add_f16_e32 v70, v13, v28
	v_add_f16_e32 v71, v29, v30
	v_fmac_f16_e32 v66, 0x34f2, v32
	v_fmac_f16_e32 v64, 0xb8b4, v65
	;; [unrolled: 1-line block ×3, first 2 shown]
	v_add_f16_e32 v32, v33, v57
	v_fmamk_f16 v33, v65, 0x3b9c, v5
	v_fmac_f16_e32 v34, 0x38b4, v65
	v_add_f16_e32 v67, v67, v68
	v_fmac_f16_e32 v5, 0xbb9c, v65
	v_add_f16_e32 v65, v70, v29
	v_fma_f16 v68, -0.5, v71, v13
	v_sub_f16_e32 v52, v52, v57
	v_add_f16_e32 v57, v28, v31
	v_fmac_f16_e32 v64, 0x34f2, v48
	v_fmac_f16_e32 v33, 0xb8b4, v35
	;; [unrolled: 1-line block ×4, first 2 shown]
	v_add_f16_e32 v35, v65, v30
	v_fmamk_f16 v48, v52, 0x3b9c, v68
	v_sub_f16_e32 v53, v53, v55
	v_sub_f16_e32 v55, v28, v29
	;; [unrolled: 1-line block ×3, first 2 shown]
	v_fmac_f16_e32 v13, -0.5, v57
	v_fmac_f16_e32 v68, 0xbb9c, v52
	v_sub_f16_e32 v28, v29, v28
	v_sub_f16_e32 v29, v30, v31
	v_add_f16_e32 v30, v19, v23
	v_add_f16_e32 v35, v35, v31
	v_fmac_f16_e32 v48, 0x38b4, v53
	v_add_f16_e32 v55, v55, v65
	v_fmamk_f16 v57, v53, 0xbb9c, v13
	v_fmac_f16_e32 v68, 0xb8b4, v53
	v_add_f16_e32 v28, v28, v29
	v_fmac_f16_e32 v13, 0x3b9c, v53
	v_add_f16_e32 v29, v0, v21
	v_fma_f16 v30, -0.5, v30, v0
	v_sub_f16_e32 v31, v17, v26
	v_fmac_f16_e32 v33, 0x34f2, v67
	v_fmac_f16_e32 v5, 0x34f2, v67
	;; [unrolled: 1-line block ×6, first 2 shown]
	v_add_f16_e32 v29, v29, v19
	v_fmamk_f16 v52, v31, 0xbb9c, v30
	v_sub_f16_e32 v53, v18, v22
	v_sub_f16_e32 v55, v21, v19
	;; [unrolled: 1-line block ×3, first 2 shown]
	v_fmac_f16_e32 v30, 0x3b9c, v31
	v_add_f16_e32 v67, v21, v36
	v_lshrrev_b32_e32 v12, 16, v0
	v_add_f16_e32 v29, v29, v23
	v_fmac_f16_e32 v52, 0xb8b4, v53
	v_add_f16_e32 v55, v55, v65
	v_fmac_f16_e32 v30, 0x38b4, v53
	v_fmac_f16_e32 v0, -0.5, v67
	v_sub_f16_e32 v65, v19, v21
	v_sub_f16_e32 v67, v23, v36
	v_fmac_f16_e32 v57, 0x34f2, v28
	v_fmac_f16_e32 v13, 0x34f2, v28
	v_add_f16_e32 v28, v29, v36
	v_fmac_f16_e32 v52, 0x34f2, v55
	v_fmac_f16_e32 v30, 0x34f2, v55
	v_fmamk_f16 v29, v53, 0x3b9c, v0
	v_add_f16_e32 v55, v18, v22
	v_fmac_f16_e32 v0, 0xbb9c, v53
	v_add_f16_e32 v53, v12, v17
	v_sub_f16_e32 v21, v21, v36
	v_add_f16_e32 v36, v65, v67
	v_add_f16_e32 v65, v17, v26
	v_fma_f16 v55, -0.5, v55, v12
	v_fmac_f16_e32 v29, 0xb8b4, v31
	v_fmac_f16_e32 v0, 0x38b4, v31
	v_add_f16_e32 v31, v53, v18
	v_sub_f16_e32 v19, v19, v23
	v_fmac_f16_e32 v12, -0.5, v65
	v_fmamk_f16 v53, v21, 0x3b9c, v55
	v_fmac_f16_e32 v55, 0xbb9c, v21
	v_add_f16_e32 v23, v31, v22
	v_sub_f16_e32 v31, v17, v18
	v_fmamk_f16 v65, v19, 0xbb9c, v12
	v_sub_f16_e32 v17, v18, v17
	v_sub_f16_e32 v18, v22, v26
	v_fmac_f16_e32 v12, 0x3b9c, v19
	v_fmac_f16_e32 v53, 0x38b4, v19
	;; [unrolled: 1-line block ×4, first 2 shown]
	v_add_f16_e32 v17, v17, v18
	v_fmac_f16_e32 v12, 0xb8b4, v21
	v_pack_b32_f16 v19, v20, v38
	v_fmac_f16_e32 v29, 0x34f2, v36
	v_fmac_f16_e32 v0, 0x34f2, v36
	v_sub_f16_e32 v36, v26, v22
	v_pack_b32_f16 v20, v25, v56
	v_pack_b32_f16 v2, v2, v15
	;; [unrolled: 1-line block ×3, first 2 shown]
	v_fmac_f16_e32 v65, 0x34f2, v17
	v_fmac_f16_e32 v12, 0x34f2, v17
	v_pack_b32_f16 v17, v24, v37
	v_pack_b32_f16 v15, v39, v54
	ds_write_b32 v79, v19 offset:1120
	ds_write_b32 v79, v20 offset:2240
	;; [unrolled: 1-line block ×4, first 2 shown]
	ds_write2_b32 v79, v17, v15 offset1:56
	v_pack_b32_f16 v1, v58, v59
	v_pack_b32_f16 v15, v60, v63
	v_add_f16_e32 v22, v31, v36
	v_pack_b32_f16 v2, v46, v61
	v_pack_b32_f16 v17, v49, v66
	;; [unrolled: 1-line block ×4, first 2 shown]
	v_add_f16_e32 v18, v23, v26
	v_pack_b32_f16 v14, v47, v62
	v_pack_b32_f16 v16, v27, v50
	;; [unrolled: 1-line block ×3, first 2 shown]
	ds_write2_b32 v9, v1, v15 offset0:80 offset1:136
	ds_write2_b32 v7, v2, v17 offset0:104 offset1:160
	;; [unrolled: 1-line block ×3, first 2 shown]
	v_pack_b32_f16 v1, v32, v35
	v_pack_b32_f16 v2, v33, v57
	v_fmac_f16_e32 v53, 0x34f2, v22
	v_pack_b32_f16 v3, v5, v13
	v_pack_b32_f16 v4, v34, v68
	v_fmac_f16_e32 v55, 0x34f2, v22
	ds_write2_b32 v8, v14, v19 offset0:152 offset1:208
	ds_write2_b32 v79, v16, v1 offset0:112 offset1:168
	ds_write_b32 v79, v2 offset:2912
	ds_write_b32 v79, v3 offset:4032
	;; [unrolled: 1-line block ×3, first 2 shown]
	v_pack_b32_f16 v2, v28, v18
	v_pack_b32_f16 v1, v64, v48
	;; [unrolled: 1-line block ×6, first 2 shown]
	ds_write_b32 v79, v2 offset:896
	ds_write2_b32 v9, v1, v3 offset0:192 offset1:248
	ds_write_b32 v79, v4 offset:3136
	ds_write_b32 v79, v0 offset:4256
	;; [unrolled: 1-line block ×3, first 2 shown]
	s_waitcnt lgkmcnt(0)
	s_barrier
	buffer_gl0_inv
	ds_read2_b32 v[1:2], v79 offset1:56
	ds_read2_b32 v[12:13], v7 offset0:188 offset1:244
	s_waitcnt lgkmcnt(1)
	v_lshrrev_b32_e32 v0, 16, v1
	s_waitcnt lgkmcnt(0)
	v_lshrrev_b32_e32 v18, 16, v12
	v_mul_f16_sdwa v3, v105, v0 dst_sel:DWORD dst_unused:UNUSED_PAD src0_sel:WORD_1 src1_sel:DWORD
	v_mul_f16_sdwa v19, v104, v18 dst_sel:DWORD dst_unused:UNUSED_PAD src0_sel:WORD_1 src1_sel:DWORD
	v_fmac_f16_e32 v3, v105, v1
	v_mul_f16_sdwa v1, v105, v1 dst_sel:DWORD dst_unused:UNUSED_PAD src0_sel:WORD_1 src1_sel:DWORD
	v_fmac_f16_e32 v19, v104, v12
	v_mul_f16_sdwa v12, v104, v12 dst_sel:DWORD dst_unused:UNUSED_PAD src0_sel:WORD_1 src1_sel:DWORD
	v_cvt_f32_f16_e32 v3, v3
	v_fma_f16 v0, v105, v0, -v1
	v_fma_f16 v12, v104, v18, -v12
	v_cvt_f64_f32_e32 v[3:4], v3
	v_cvt_f32_f16_e32 v0, v0
	v_cvt_f32_f16_e32 v12, v12
	v_cvt_f64_f32_e32 v[0:1], v0
	v_mul_f64 v[3:4], v[3:4], s[4:5]
	v_mul_f64 v[0:1], v[0:1], s[4:5]
	v_and_or_b32 v3, 0x1ff, v4, v3
	v_lshrrev_b32_e32 v5, 8, v4
	v_bfe_u32 v14, v4, 20, 11
	v_cmp_ne_u32_e64 s0, 0, v3
	v_and_or_b32 v0, 0x1ff, v1, v0
	v_lshrrev_b32_e32 v17, 8, v1
	v_bfe_u32 v20, v1, 20, 11
	v_add_nc_u32_e32 v22, 0xfffffc10, v14
	v_cndmask_b32_e64 v3, 0, 1, s0
	v_cmp_ne_u32_e64 s0, 0, v0
	v_cmp_eq_u32_e64 s2, 0x40f, v22
	v_and_or_b32 v3, 0xffe, v5, v3
	v_sub_nc_u32_e32 v5, 0x3f1, v14
	v_cndmask_b32_e64 v0, 0, 1, s0
	v_cvt_f32_f16_e32 v14, v19
	v_or_b32_e32 v15, 0x1000, v3
	v_med3_i32 v5, v5, 0, 13
	v_and_or_b32 v21, 0xffe, v17, v0
	v_sub_nc_u32_e32 v0, 0x3f1, v20
	v_lshl_or_b32 v23, v22, 12, v3
	v_lshrrev_b32_e32 v16, v5, v15
	v_or_b32_e32 v19, 0x1000, v21
	v_med3_i32 v0, v0, 0, 13
	v_lshlrev_b32_e32 v5, v5, v16
	v_lshrrev_b32_e32 v24, v0, v19
	v_cmp_ne_u32_e64 s0, v5, v15
	v_cvt_f64_f32_e32 v[14:15], v14
	v_cndmask_b32_e64 v5, 0, 1, s0
	v_cmp_gt_i32_e64 s0, 1, v22
	v_or_b32_e32 v5, v16, v5
	v_mad_u64_u32 v[16:17], null, s10, v44, 0
	v_cndmask_b32_e64 v5, v23, v5, s0
	v_lshlrev_b32_e32 v23, v0, v24
	v_mov_b32_e32 v0, v17
	v_and_b32_e32 v25, 7, v5
	v_cmp_ne_u32_e64 s0, v23, v19
	v_lshrrev_b32_e32 v5, 2, v5
	v_add_nc_u32_e32 v23, 0xfffffc10, v20
	v_mul_f64 v[14:15], v[14:15], s[4:5]
	v_cmp_eq_u32_e64 s1, 3, v25
	v_cndmask_b32_e64 v17, 0, 1, s0
	v_cmp_lt_i32_e64 s0, 5, v25
	v_lshl_or_b32 v19, v23, 12, v21
	v_or_b32_e32 v17, v24, v17
	s_or_b32 s0, s1, s0
	v_add_co_ci_u32_e64 v5, s0, 0, v5, s0
	v_cmp_gt_i32_e64 s0, 1, v23
	v_cndmask_b32_e64 v24, v19, v17, s0
	v_cmp_ne_u32_e64 s0, 0, v3
	v_cvt_f64_f32_e32 v[17:18], v12
	v_mad_u64_u32 v[19:20], null, s11, v44, v[0:1]
	v_and_b32_e32 v25, 7, v24
	v_cndmask_b32_e64 v3, 0, 1, s0
	v_cmp_gt_i32_e64 s0, 31, v22
	v_bfe_u32 v22, v15, 20, 11
	v_lshrrev_b32_e32 v1, 16, v1
	v_cmp_eq_u32_e64 s1, 3, v25
	v_lshl_or_b32 v3, v3, 9, 0x7c00
	v_cndmask_b32_e64 v5, 0x7c00, v5, s0
	v_cmp_lt_i32_e64 s0, 5, v25
	v_cndmask_b32_e64 v0, v5, v3, s2
	v_lshrrev_b32_e32 v3, 2, v24
	s_or_b32 s0, s1, s0
	v_lshrrev_b32_e32 v5, 16, v4
	v_and_or_b32 v4, 0x1ff, v15, v14
	v_lshrrev_b32_e32 v14, 8, v15
	v_add_co_ci_u32_e64 v3, s0, 0, v3, s0
	v_cmp_ne_u32_e64 s0, 0, v21
	v_and_or_b32 v5, 0x8000, v5, v0
	v_lshrrev_b32_e32 v24, 16, v2
	v_lshrrev_b32_e32 v15, 16, v15
	v_cndmask_b32_e64 v12, 0, 1, s0
	v_cmp_ne_u32_e64 s0, 0, v4
	v_lshl_or_b32 v12, v12, 9, 0x7c00
	v_cndmask_b32_e64 v4, 0, 1, s0
	v_cmp_gt_i32_e64 s0, 31, v23
	v_and_or_b32 v14, 0xffe, v14, v4
	v_cndmask_b32_e64 v20, 0x7c00, v3, s0
	v_mul_f64 v[3:4], v[17:18], s[4:5]
	v_sub_nc_u32_e32 v17, 0x3f1, v22
	v_cmp_eq_u32_e64 s0, 0x40f, v23
	v_or_b32_e32 v18, 0x1000, v14
	v_add_nc_u32_e32 v22, 0xfffffc10, v22
	v_med3_i32 v23, v17, 0, 13
	v_cndmask_b32_e64 v12, v20, v12, s0
	v_mad_u64_u32 v[20:21], null, s8, v101, 0
	v_mov_b32_e32 v17, v19
	v_lshrrev_b32_e32 v19, v23, v18
	v_and_or_b32 v12, 0x8000, v1, v12
                                        ; kill: def $vgpr1 killed $sgpr0 killed $exec
	v_lshl_or_b32 v26, v22, 12, v14
	v_lshlrev_b64 v[16:17], 2, v[16:17]
	v_mov_b32_e32 v0, v21
	v_lshlrev_b32_e32 v21, v23, v19
	v_mad_u64_u32 v[0:1], null, s9, v101, v[0:1]
	v_and_or_b32 v3, 0x1ff, v4, v3
	v_cmp_ne_u32_e64 s0, v21, v18
	v_and_b32_e32 v1, 0xffff, v5
	v_mul_f16_sdwa v5, v103, v24 dst_sel:DWORD dst_unused:UNUSED_PAD src0_sel:WORD_1 src1_sel:DWORD
	v_lshrrev_b32_e32 v21, 8, v4
	v_bfe_u32 v23, v4, 20, 11
	v_cndmask_b32_e64 v18, 0, 1, s0
	v_cmp_ne_u32_e64 s0, 0, v3
	v_fmac_f16_e32 v5, v103, v2
	v_mul_f16_sdwa v2, v103, v2 dst_sel:DWORD dst_unused:UNUSED_PAD src0_sel:WORD_1 src1_sel:DWORD
	v_lshl_or_b32 v12, v12, 16, v1
	v_or_b32_e32 v25, v19, v18
	v_cndmask_b32_e64 v3, 0, 1, s0
	v_cvt_f32_f16_e32 v5, v5
	v_cmp_gt_i32_e64 s0, 1, v22
	v_lshrrev_b32_e32 v4, 16, v4
	v_and_or_b32 v27, 0xffe, v21, v3
	v_sub_nc_u32_e32 v3, 0x3f1, v23
	v_cvt_f64_f32_e32 v[18:19], v5
	v_cndmask_b32_e64 v5, v26, v25, s0
	v_mov_b32_e32 v21, v0
	v_or_b32_e32 v25, 0x1000, v27
	v_med3_i32 v3, v3, 0, 13
	v_add_co_u32 v0, s0, s6, v16
	v_and_b32_e32 v26, 7, v5
	v_add_co_ci_u32_e64 v1, s0, s7, v17, s0
	v_lshrrev_b32_e32 v28, v3, v25
	v_fma_f16 v16, v103, v24, -v2
	v_cmp_lt_i32_e64 s0, 5, v26
	v_cmp_eq_u32_e64 s1, 3, v26
	v_lshrrev_b32_e32 v5, 2, v5
	v_lshlrev_b32_e32 v3, v3, v28
	v_cvt_f32_f16_e32 v16, v16
	v_add_nc_u32_e32 v23, 0xfffffc10, v23
	s_or_b32 s0, s1, s0
	v_cmp_ne_u32_e64 s2, v3, v25
	v_add_co_ci_u32_e64 v5, s0, 0, v5, s0
	v_mul_f64 v[2:3], v[18:19], s[4:5]
	v_cmp_ne_u32_e64 s0, 0, v14
	v_cndmask_b32_e64 v17, 0, 1, s2
	v_lshl_or_b32 v19, v23, 12, v27
	v_cndmask_b32_e64 v14, 0, 1, s0
	v_or_b32_e32 v18, v28, v17
	v_cvt_f64_f32_e32 v[16:17], v16
	v_cmp_gt_i32_e64 s0, 1, v23
	v_lshl_or_b32 v14, v14, 9, 0x7c00
	v_cndmask_b32_e64 v24, v19, v18, s0
	v_lshlrev_b64 v[18:19], 2, v[20:21]
	v_cmp_gt_i32_e64 s0, 31, v22
	v_and_b32_e32 v20, 7, v24
	v_cndmask_b32_e64 v5, 0x7c00, v5, s0
	v_add_co_u32 v18, s0, v0, v18
	v_add_co_ci_u32_e64 v19, s0, v1, v19, s0
	v_cmp_eq_u32_e64 s0, 0x40f, v22
	v_and_or_b32 v2, 0x1ff, v3, v2
	v_cmp_eq_u32_e64 s1, 3, v20
	v_bfe_u32 v21, v3, 20, 11
	v_mul_f64 v[16:17], v[16:17], s[4:5]
	v_cndmask_b32_e64 v5, v5, v14, s0
	v_cmp_lt_i32_e64 s0, 5, v20
	v_lshrrev_b32_e32 v14, 2, v24
	v_cmp_ne_u32_e64 s2, 0, v2
	v_lshrrev_b32_e32 v20, 8, v3
	global_store_dword v[18:19], v12, off
	s_or_b32 s0, s1, s0
	v_and_or_b32 v12, 0x8000, v15, v5
	v_add_co_ci_u32_e64 v14, s0, 0, v14, s0
	v_cndmask_b32_e64 v2, 0, 1, s2
	v_cmp_ne_u32_e64 s0, 0, v27
	v_and_b32_e32 v12, 0xffff, v12
	s_mul_i32 s1, s9, 0x2bc
	v_and_or_b32 v2, 0xffe, v20, v2
	v_cndmask_b32_e64 v22, 0, 1, s0
	v_sub_nc_u32_e32 v20, 0x3f1, v21
	v_cmp_gt_i32_e64 s0, 31, v23
	v_add_nc_u32_e32 v21, 0xfffffc10, v21
	v_or_b32_e32 v24, 0x1000, v2
	v_lshl_or_b32 v22, v22, 9, 0x7c00
	v_med3_i32 v20, v20, 0, 13
	v_cndmask_b32_e64 v14, 0x7c00, v14, s0
	v_cmp_eq_u32_e64 s0, 0x40f, v23
	v_and_or_b32 v15, 0x1ff, v17, v16
	v_lshrrev_b32_e32 v16, 16, v13
	v_lshrrev_b32_e32 v5, v20, v24
	v_bfe_u32 v23, v17, 20, 11
	v_cndmask_b32_e64 v14, v14, v22, s0
	v_cmp_ne_u32_e64 s0, 0, v15
	v_mul_f16_sdwa v22, v102, v16 dst_sel:DWORD dst_unused:UNUSED_PAD src0_sel:WORD_1 src1_sel:DWORD
	v_and_or_b32 v14, 0x8000, v4, v14
	v_lshlrev_b32_e32 v4, v20, v5
	v_cndmask_b32_e64 v15, 0, 1, s0
	v_lshrrev_b32_e32 v20, 8, v17
	v_fmac_f16_e32 v22, v102, v13
	v_lshl_or_b32 v27, v14, 16, v12
	v_cmp_ne_u32_e64 s0, v4, v24
	v_mul_f16_sdwa v13, v102, v13 dst_sel:DWORD dst_unused:UNUSED_PAD src0_sel:WORD_1 src1_sel:DWORD
	v_and_or_b32 v20, 0xffe, v20, v15
	v_sub_nc_u32_e32 v15, 0x3f1, v23
	v_cvt_f32_f16_e32 v22, v22
	v_cndmask_b32_e64 v4, 0, 1, s0
	v_cmp_gt_i32_e64 s0, 1, v21
	v_or_b32_e32 v24, 0x1000, v20
	v_med3_i32 v15, v15, 0, 13
	v_add_nc_u32_e32 v23, 0xfffffc10, v23
	v_or_b32_e32 v4, v5, v4
	v_lshl_or_b32 v5, v21, 12, v2
	v_fma_f16 v13, v102, v16, -v13
	v_lshrrev_b32_e32 v17, 16, v17
	v_cndmask_b32_e64 v25, v5, v4, s0
	v_cvt_f64_f32_e32 v[4:5], v22
	v_lshrrev_b32_e32 v22, v15, v24
	s_mul_hi_u32 s0, s8, 0x2bc
	v_cvt_f32_f16_e32 v13, v13
	v_and_b32_e32 v26, 7, v25
	s_add_i32 s1, s0, s1
	s_mul_i32 s0, s8, 0x2bc
	v_lshlrev_b32_e32 v12, v15, v22
	s_lshl_b64 s[6:7], s[0:1], 2
	v_cmp_lt_i32_e64 s0, 5, v26
	v_cmp_eq_u32_e64 s1, 3, v26
	v_lshrrev_b32_e32 v14, 2, v25
	v_cmp_ne_u32_e64 s2, v12, v24
	v_lshl_or_b32 v15, v23, 12, v20
	s_or_b32 s0, s1, s0
	v_add_co_ci_u32_e64 v14, s0, 0, v14, s0
	v_cndmask_b32_e64 v12, 0, 1, s2
	v_cmp_ne_u32_e64 s0, 0, v2
	s_mul_hi_u32 s2, s8, 0xfffffd7c
	v_mul_f64 v[4:5], v[4:5], s[4:5]
	v_or_b32_e32 v12, v22, v12
	v_cndmask_b32_e64 v2, 0, 1, s0
	v_cmp_gt_i32_e64 s0, 1, v23
	v_lshl_or_b32 v2, v2, 9, 0x7c00
	v_cndmask_b32_e64 v16, v15, v12, s0
	v_cmp_gt_i32_e64 s0, 31, v21
	v_cvt_f64_f32_e32 v[12:13], v13
	v_and_b32_e32 v24, 7, v16
	v_cndmask_b32_e64 v22, 0x7c00, v14, s0
	v_add_co_u32 v14, s0, v18, s6
	v_add_co_ci_u32_e64 v15, s0, s7, v19, s0
	v_cmp_eq_u32_e64 s0, 0x40f, v21
	v_cmp_eq_u32_e64 s1, 3, v24
	v_and_or_b32 v4, 0x1ff, v5, v4
	ds_read2_b32 v[18:19], v79 offset0:112 offset1:168
	v_bfe_u32 v25, v5, 20, 11
	v_cndmask_b32_e64 v21, v22, v2, s0
	v_cmp_lt_i32_e64 s0, 5, v24
	v_lshrrev_b32_e32 v2, 2, v16
	v_lshrrev_b32_e32 v24, 8, v5
	;; [unrolled: 1-line block ×3, first 2 shown]
	global_store_dword v[14:15], v27, off
	s_or_b32 s0, s1, s0
	s_mul_i32 s1, s9, 0xfffffd7c
	v_add_co_ci_u32_e64 v22, s0, 0, v2, s0
	v_cmp_ne_u32_e64 s0, 0, v4
	v_mul_f64 v[2:3], v[12:13], s[4:5]
	v_sub_nc_u32_e32 v13, 0x3f1, v25
	v_and_or_b32 v16, 0x8000, v16, v21
	v_add_nc_u32_e32 v25, 0xfffffc10, v25
	v_cndmask_b32_e64 v4, 0, 1, s0
	v_cmp_ne_u32_e64 s0, 0, v20
	v_med3_i32 v13, v13, 0, 13
	v_and_b32_e32 v16, 0xffff, v16
	v_lshrrev_b32_e32 v29, 16, v5
	v_and_or_b32 v4, 0xffe, v24, v4
	v_cndmask_b32_e64 v12, 0, 1, s0
	v_cmp_gt_i32_e64 s0, 31, v23
	s_waitcnt lgkmcnt(0)
	v_lshrrev_b32_e32 v24, 16, v18
	v_lshl_or_b32 v12, v12, 9, 0x7c00
	v_cndmask_b32_e64 v20, 0x7c00, v22, s0
	v_or_b32_e32 v22, 0x1000, v4
	v_cmp_eq_u32_e64 s0, 0x40f, v23
	v_mul_f16_sdwa v23, v100, v24 dst_sel:DWORD dst_unused:UNUSED_PAD src0_sel:WORD_1 src1_sel:DWORD
	v_and_or_b32 v2, 0x1ff, v3, v2
	v_cndmask_b32_e64 v12, v20, v12, s0
	v_lshrrev_b32_e32 v20, v13, v22
	v_fmac_f16_e32 v23, v100, v18
	v_mul_f16_sdwa v18, v100, v18 dst_sel:DWORD dst_unused:UNUSED_PAD src0_sel:WORD_1 src1_sel:DWORD
	v_and_or_b32 v17, 0x8000, v17, v12
	v_lshlrev_b32_e32 v12, v13, v20
	v_lshl_or_b32 v28, v17, 16, v16
	v_cmp_ne_u32_e64 s0, v12, v22
	v_cvt_f32_f16_e32 v12, v23
	v_lshrrev_b32_e32 v22, 8, v3
	v_bfe_u32 v23, v3, 20, 11
	v_fma_f16 v16, v100, v24, -v18
	v_cndmask_b32_e64 v21, 0, 1, s0
	v_cmp_ne_u32_e64 s0, 0, v2
	v_cvt_f64_f32_e32 v[12:13], v12
	v_lshrrev_b32_e32 v3, 16, v3
	v_cvt_f32_f16_e32 v16, v16
	v_or_b32_e32 v20, v20, v21
	v_cndmask_b32_e64 v2, 0, 1, s0
	s_sub_i32 s0, s2, s8
	v_lshl_or_b32 v21, v25, 12, v4
	s_add_i32 s1, s0, s1
	v_cmp_gt_i32_e64 s0, 1, v25
	v_and_or_b32 v2, 0xffe, v22, v2
	v_sub_nc_u32_e32 v22, 0x3f1, v23
	v_cndmask_b32_e64 v20, v21, v20, s0
	v_or_b32_e32 v26, 0x1000, v2
	v_med3_i32 v22, v22, 0, 13
	s_mul_i32 s0, s8, 0xfffffd7c
	v_and_b32_e32 v27, 7, v20
	s_lshl_b64 s[10:11], s[0:1], 2
	v_lshrrev_b32_e32 v21, v22, v26
	v_lshrrev_b32_e32 v20, 2, v20
	v_mul_f64 v[12:13], v[12:13], s[4:5]
	v_cmp_lt_i32_e64 s0, 5, v27
	v_cmp_eq_u32_e64 s1, 3, v27
	v_lshlrev_b32_e32 v17, v22, v21
	v_add_nc_u32_e32 v22, 0xfffffc10, v23
	s_or_b32 s0, s1, s0
	v_cmp_ne_u32_e64 s2, v17, v26
	v_add_co_ci_u32_e64 v23, s0, 0, v20, s0
	v_cmp_ne_u32_e64 s0, 0, v4
	v_cvt_f64_f32_e32 v[16:17], v16
	v_cndmask_b32_e64 v18, 0, 1, s2
	v_add_co_u32 v14, s2, v14, s10
	v_cndmask_b32_e64 v4, 0, 1, s0
	v_cmp_gt_i32_e64 s0, 1, v22
	v_or_b32_e32 v18, v21, v18
	v_lshl_or_b32 v21, v22, 12, v2
	v_add_co_ci_u32_e64 v15, s2, s11, v15, s2
	v_and_or_b32 v12, 0x1ff, v13, v12
	v_lshl_or_b32 v4, v4, 9, 0x7c00
	v_cndmask_b32_e64 v18, v21, v18, s0
	v_cmp_gt_i32_e64 s0, 31, v25
	ds_read2_b32 v[20:21], v10 offset0:44 offset1:100
	v_lshrrev_b32_e32 v26, 8, v13
	v_bfe_u32 v27, v13, 20, 11
	v_and_b32_e32 v24, 7, v18
	v_cndmask_b32_e64 v23, 0x7c00, v23, s0
	v_cmp_ne_u32_e64 s0, 0, v12
	v_lshrrev_b32_e32 v18, 2, v18
	global_store_dword v[14:15], v28, off
	v_mul_f64 v[16:17], v[16:17], s[4:5]
	v_cmp_eq_u32_e64 s1, 3, v24
	v_cndmask_b32_e64 v12, 0, 1, s0
	v_cmp_eq_u32_e64 s0, 0x40f, v25
	v_and_or_b32 v12, 0xffe, v26, v12
	v_cndmask_b32_e64 v23, v23, v4, s0
	v_sub_nc_u32_e32 v4, 0x3f1, v27
	v_cmp_lt_i32_e64 s0, 5, v24
	v_add_nc_u32_e32 v27, 0xfffffc10, v27
	v_or_b32_e32 v24, 0x1000, v12
	s_waitcnt lgkmcnt(0)
	v_lshrrev_b32_e32 v25, 16, v20
	v_med3_i32 v4, v4, 0, 13
	s_or_b32 s0, s1, s0
	v_add_co_ci_u32_e64 v18, s0, 0, v18, s0
	v_lshrrev_b32_e32 v26, v4, v24
	v_cmp_gt_i32_e64 s0, 31, v22
	v_mul_f16_sdwa v5, v99, v25 dst_sel:DWORD dst_unused:UNUSED_PAD src0_sel:WORD_1 src1_sel:DWORD
	v_and_or_b32 v16, 0x1ff, v17, v16
	v_lshrrev_b32_e32 v30, 8, v17
	v_lshlrev_b32_e32 v4, v4, v26
	v_cndmask_b32_e64 v18, 0x7c00, v18, s0
	v_cmp_ne_u32_e64 s0, 0, v2
	v_fmac_f16_e32 v5, v99, v20
	v_bfe_u32 v31, v17, 20, 11
	v_lshrrev_b32_e32 v17, 16, v17
	v_cndmask_b32_e64 v2, 0, 1, s0
	v_cmp_ne_u32_e64 s0, v4, v24
	v_cvt_f32_f16_e32 v4, v5
	v_lshl_or_b32 v2, v2, 9, 0x7c00
	v_cndmask_b32_e64 v24, 0, 1, s0
	v_cmp_ne_u32_e64 s0, 0, v16
	v_cvt_f64_f32_e32 v[4:5], v4
	v_or_b32_e32 v24, v26, v24
	v_cndmask_b32_e64 v16, 0, 1, s0
	v_lshl_or_b32 v26, v27, 12, v12
	v_cmp_gt_i32_e64 s0, 1, v27
	v_and_or_b32 v16, 0xffe, v30, v16
	v_sub_nc_u32_e32 v30, 0x3f1, v31
	v_cndmask_b32_e64 v24, v26, v24, s0
	v_cmp_eq_u32_e64 s0, 0x40f, v22
	v_or_b32_e32 v26, 0x1000, v16
	v_med3_i32 v30, v30, 0, 13
	v_and_b32_e32 v22, 7, v24
	v_cndmask_b32_e64 v2, v18, v2, s0
	v_and_or_b32 v18, 0x8000, v29, v23
	v_lshrrev_b32_e32 v23, v30, v26
	v_cmp_lt_i32_e64 s0, 5, v22
	v_cmp_eq_u32_e64 s1, 3, v22
	v_and_or_b32 v28, 0x8000, v3, v2
	v_mul_f64 v[2:3], v[4:5], s[4:5]
	v_lshlrev_b32_e32 v29, v30, v23
	v_lshrrev_b32_e32 v5, 2, v24
	v_mul_f16_sdwa v4, v99, v20 dst_sel:DWORD dst_unused:UNUSED_PAD src0_sel:WORD_1 src1_sel:DWORD
	s_or_b32 s0, s1, s0
	v_add_nc_u32_e32 v22, 0xfffffc10, v31
	v_cmp_ne_u32_e64 s2, v29, v26
	v_add_co_ci_u32_e64 v24, s0, 0, v5, s0
	v_fma_f16 v4, v99, v25, -v4
	v_cmp_ne_u32_e64 s0, 0, v12
	v_cndmask_b32_e64 v20, 0, 1, s2
	v_lshrrev_b32_e32 v25, 16, v19
	v_and_b32_e32 v18, 0xffff, v18
	v_cvt_f32_f16_e32 v4, v4
	v_cndmask_b32_e64 v12, 0, 1, s0
	v_or_b32_e32 v5, v23, v20
	v_lshl_or_b32 v20, v22, 12, v16
	v_cmp_gt_i32_e64 s0, 1, v22
	v_mul_f16_sdwa v26, v98, v25 dst_sel:DWORD dst_unused:UNUSED_PAD src0_sel:WORD_1 src1_sel:DWORD
	v_lshl_or_b32 v12, v12, 9, 0x7c00
	v_lshl_or_b32 v18, v28, 16, v18
	v_and_or_b32 v2, 0x1ff, v3, v2
	v_cndmask_b32_e64 v20, v20, v5, s0
	v_cvt_f64_f32_e32 v[4:5], v4
	v_cmp_gt_i32_e64 s0, 31, v27
	v_fmac_f16_e32 v26, v98, v19
	v_cmp_ne_u32_e64 s2, 0, v2
	v_lshrrev_b32_e32 v28, 16, v13
	v_mul_f16_sdwa v19, v98, v19 dst_sel:DWORD dst_unused:UNUSED_PAD src0_sel:WORD_1 src1_sel:DWORD
	v_cndmask_b32_e64 v23, 0x7c00, v24, s0
	v_and_b32_e32 v24, 7, v20
	v_cmp_eq_u32_e64 s0, 0x40f, v27
	v_cndmask_b32_e64 v2, 0, 1, s2
	v_cvt_f32_f16_e32 v13, v26
	v_cmp_eq_u32_e64 s1, 3, v24
	v_cndmask_b32_e64 v23, v23, v12, s0
	v_cmp_lt_i32_e64 s0, 5, v24
	v_lshrrev_b32_e32 v12, 2, v20
	v_lshrrev_b32_e32 v20, 8, v3
	v_bfe_u32 v24, v3, 20, 11
	s_or_b32 s0, s1, s0
	v_and_or_b32 v2, 0xffe, v20, v2
	v_mul_f64 v[4:5], v[4:5], s[4:5]
	v_sub_nc_u32_e32 v20, 0x3f1, v24
	v_add_co_ci_u32_e64 v12, s0, 0, v12, s0
	v_cmp_ne_u32_e64 s0, 0, v16
	v_or_b32_e32 v27, 0x1000, v2
	v_med3_i32 v20, v20, 0, 13
	v_cndmask_b32_e64 v16, 0, 1, s0
	v_cmp_gt_i32_e64 s0, 31, v22
	v_lshrrev_b32_e32 v29, v20, v27
	v_lshl_or_b32 v16, v16, 9, 0x7c00
	v_cndmask_b32_e64 v12, 0x7c00, v12, s0
	v_cmp_eq_u32_e64 s0, 0x40f, v22
	v_lshlrev_b32_e32 v20, v20, v29
	v_and_or_b32 v22, 0x8000, v28, v23
	v_cndmask_b32_e64 v16, v12, v16, s0
	v_add_co_u32 v14, s0, v14, s6
	v_add_co_ci_u32_e64 v15, s0, s7, v15, s0
	v_and_or_b32 v4, 0x1ff, v5, v4
	v_cmp_ne_u32_e64 s0, v20, v27
	v_cvt_f64_f32_e32 v[12:13], v13
	v_and_or_b32 v16, 0x8000, v17, v16
	v_add_nc_u32_e32 v20, 0xfffffc10, v24
	v_lshrrev_b32_e32 v23, 8, v5
	v_cndmask_b32_e64 v17, 0, 1, s0
	v_cmp_ne_u32_e64 s0, 0, v4
	v_bfe_u32 v24, v5, 20, 11
	v_lshl_or_b32 v26, v20, 12, v2
	v_and_b32_e32 v22, 0xffff, v22
	v_or_b32_e32 v17, v29, v17
	v_cndmask_b32_e64 v4, 0, 1, s0
	v_cmp_gt_i32_e64 s0, 1, v20
	global_store_dword v[14:15], v18, off
	v_lshl_or_b32 v22, v16, 16, v22
	v_lshrrev_b32_e32 v5, 16, v5
	v_and_or_b32 v4, 0xffe, v23, v4
	v_sub_nc_u32_e32 v23, 0x3f1, v24
	v_cndmask_b32_e64 v26, v26, v17, s0
	v_add_co_u32 v16, s0, v14, s10
	v_or_b32_e32 v27, 0x1000, v4
	v_med3_i32 v23, v23, 0, 13
	v_mul_f64 v[12:13], v[12:13], s[4:5]
	v_and_b32_e32 v29, 7, v26
	v_add_co_ci_u32_e64 v17, s0, s11, v15, s0
	v_lshrrev_b32_e32 v28, v23, v27
	v_fma_f16 v14, v98, v25, -v19
	v_cmp_lt_i32_e64 s0, 5, v29
	v_cmp_eq_u32_e64 s1, 3, v29
	v_lshrrev_b32_e32 v18, 2, v26
	v_lshlrev_b32_e32 v15, v23, v28
	v_cvt_f32_f16_e32 v14, v14
	global_store_dword v[16:17], v22, off
	s_or_b32 s0, s1, s0
	v_add_nc_u32_e32 v22, 0xfffffc10, v24
	v_cmp_ne_u32_e64 s2, v15, v27
	v_add_co_ci_u32_e64 v18, s0, 0, v18, s0
	v_cmp_ne_u32_e64 s0, 0, v2
	v_cvt_f64_f32_e32 v[14:15], v14
	v_cndmask_b32_e64 v19, 0, 1, s2
	v_lshl_or_b32 v23, v22, 12, v4
	v_cmp_eq_u32_e64 s2, 0x40f, v20
	v_and_or_b32 v12, 0x1ff, v13, v12
	v_cndmask_b32_e64 v2, 0, 1, s0
	v_or_b32_e32 v19, v28, v19
	v_cmp_gt_i32_e64 s0, 1, v22
	v_bfe_u32 v24, v13, 20, 11
	v_lshl_or_b32 v2, v2, 9, 0x7c00
	v_cndmask_b32_e64 v19, v23, v19, s0
	v_cmp_ne_u32_e64 s0, 0, v12
	v_lshrrev_b32_e32 v23, 8, v13
	v_and_b32_e32 v25, 7, v19
	v_cndmask_b32_e64 v12, 0, 1, s0
	v_cmp_gt_i32_e64 s0, 31, v20
	v_lshrrev_b32_e32 v19, 2, v19
	v_lshrrev_b32_e32 v20, 16, v3
	v_cmp_eq_u32_e64 s1, 3, v25
	v_and_or_b32 v12, 0xffe, v23, v12
	v_sub_nc_u32_e32 v23, 0x3f1, v24
	v_cndmask_b32_e64 v18, 0x7c00, v18, s0
	v_cmp_lt_i32_e64 s0, 5, v25
	v_mul_f64 v[14:15], v[14:15], s[4:5]
	v_or_b32_e32 v26, 0x1000, v12
	v_med3_i32 v23, v23, 0, 13
	v_cndmask_b32_e64 v18, v18, v2, s2
	s_or_b32 s0, s1, s0
	v_add_nc_u32_e32 v24, 0xfffffc10, v24
	v_add_co_ci_u32_e64 v19, s0, 0, v19, s0
	v_lshrrev_b32_e32 v2, v23, v26
	v_cmp_ne_u32_e64 s0, 0, v4
	v_and_or_b32 v18, 0x8000, v20, v18
	v_lshlrev_b32_e32 v3, v23, v2
	v_cndmask_b32_e64 v4, 0, 1, s0
	v_cmp_gt_i32_e64 s0, 31, v22
	v_lshrrev_b32_e32 v23, 16, v21
	v_and_b32_e32 v18, 0xffff, v18
	v_lshl_or_b32 v4, v4, 9, 0x7c00
	v_cndmask_b32_e64 v19, 0x7c00, v19, s0
	v_cmp_ne_u32_e64 s0, v3, v26
	v_and_or_b32 v14, 0x1ff, v15, v14
	v_mul_f16_sdwa v25, v97, v23 dst_sel:DWORD dst_unused:UNUSED_PAD src0_sel:WORD_1 src1_sel:DWORD
	v_cndmask_b32_e64 v3, 0, 1, s0
	v_cmp_eq_u32_e64 s0, 0x40f, v22
	v_bfe_u32 v22, v15, 20, 11
	v_fmac_f16_e32 v25, v97, v21
	v_or_b32_e32 v2, v2, v3
	v_cndmask_b32_e64 v4, v19, v4, s0
	v_cmp_ne_u32_e64 s0, 0, v14
	v_lshrrev_b32_e32 v19, 8, v15
	v_lshl_or_b32 v3, v24, 12, v12
	v_cvt_f32_f16_e32 v25, v25
	v_and_or_b32 v20, 0x8000, v5, v4
	v_cndmask_b32_e64 v14, 0, 1, s0
	v_cmp_gt_i32_e64 s0, 1, v24
	v_mul_f16_sdwa v4, v97, v21 dst_sel:DWORD dst_unused:UNUSED_PAD src0_sel:WORD_1 src1_sel:DWORD
	v_lshrrev_b32_e32 v15, 16, v15
	v_lshl_or_b32 v18, v20, 16, v18
	v_and_or_b32 v19, 0xffe, v19, v14
	v_sub_nc_u32_e32 v14, 0x3f1, v22
	v_cndmask_b32_e64 v26, v3, v2, s0
	v_cvt_f64_f32_e32 v[2:3], v25
	v_fma_f16 v4, v97, v23, -v4
	v_or_b32_e32 v27, 0x1000, v19
	v_med3_i32 v14, v14, 0, 13
	v_and_b32_e32 v25, 7, v26
	v_lshrrev_b32_e32 v5, 2, v26
	v_cvt_f32_f16_e32 v4, v4
	v_add_nc_u32_e32 v22, 0xfffffc10, v22
	v_lshrrev_b32_e32 v21, v14, v27
	v_cmp_lt_i32_e64 s0, 5, v25
	v_cmp_eq_u32_e64 s1, 3, v25
	v_lshlrev_b32_e32 v14, v14, v21
	s_or_b32 s0, s1, s0
	v_add_co_ci_u32_e64 v23, s0, 0, v5, s0
	v_cmp_ne_u32_e64 s0, v14, v27
	v_cvt_f64_f32_e32 v[4:5], v4
	v_mul_f64 v[2:3], v[2:3], s[4:5]
	v_cndmask_b32_e64 v14, 0, 1, s0
	v_cmp_ne_u32_e64 s0, 0, v12
	v_or_b32_e32 v14, v21, v14
	v_cndmask_b32_e64 v12, 0, 1, s0
	v_cmp_gt_i32_e64 s0, 31, v24
	v_lshl_or_b32 v21, v22, 12, v19
	v_lshl_or_b32 v12, v12, 9, 0x7c00
	v_cndmask_b32_e64 v23, 0x7c00, v23, s0
	v_cmp_gt_i32_e64 s0, 1, v22
	v_cndmask_b32_e64 v21, v21, v14, s0
	v_cmp_eq_u32_e64 s0, 0x40f, v24
	v_and_or_b32 v2, 0x1ff, v3, v2
	v_mul_f64 v[4:5], v[4:5], s[4:5]
	v_and_b32_e32 v24, 7, v21
	v_cndmask_b32_e64 v20, v23, v12, s0
	ds_read2_b32 v[11:12], v11 offset0:96 offset1:152
	v_lshrrev_b32_e32 v23, 16, v13
	v_add_co_u32 v13, s0, v16, s6
	v_cmp_ne_u32_e64 s2, 0, v2
	v_add_co_ci_u32_e64 v14, s0, s7, v17, s0
	v_cmp_lt_i32_e64 s0, 5, v24
	v_cmp_eq_u32_e64 s1, 3, v24
	v_lshrrev_b32_e32 v16, 2, v21
	v_cndmask_b32_e64 v2, 0, 1, s2
	v_lshrrev_b32_e32 v17, 8, v3
	v_bfe_u32 v21, v3, 20, 11
	s_or_b32 s0, s1, s0
	v_and_or_b32 v20, 0x8000, v23, v20
	v_add_co_ci_u32_e64 v16, s0, 0, v16, s0
	v_and_or_b32 v2, 0xffe, v17, v2
	v_sub_nc_u32_e32 v17, 0x3f1, v21
	v_cmp_ne_u32_e64 s0, 0, v19
	s_waitcnt lgkmcnt(0)
	v_lshrrev_b32_e32 v23, 16, v11
	v_and_or_b32 v4, 0x1ff, v5, v4
	v_or_b32_e32 v24, 0x1000, v2
	v_med3_i32 v17, v17, 0, 13
	v_cndmask_b32_e64 v19, 0, 1, s0
	v_mul_f16_sdwa v25, v96, v23 dst_sel:DWORD dst_unused:UNUSED_PAD src0_sel:WORD_1 src1_sel:DWORD
	v_cmp_gt_i32_e64 s0, 31, v22
	v_add_nc_u32_e32 v21, 0xfffffc10, v21
	v_lshrrev_b32_e32 v26, v17, v24
	v_lshl_or_b32 v19, v19, 9, 0x7c00
	v_fmac_f16_e32 v25, v96, v11
	v_cndmask_b32_e64 v16, 0x7c00, v16, s0
	v_cmp_eq_u32_e64 s0, 0x40f, v22
	v_lshrrev_b32_e32 v22, 8, v5
	v_mul_f16_sdwa v11, v96, v11 dst_sel:DWORD dst_unused:UNUSED_PAD src0_sel:WORD_1 src1_sel:DWORD
	global_store_dword v[13:14], v18, off
	v_cndmask_b32_e64 v19, v16, v19, s0
	v_lshlrev_b32_e32 v16, v17, v26
	v_cmp_ne_u32_e64 s0, 0, v4
	v_cvt_f32_f16_e32 v17, v25
	v_bfe_u32 v25, v5, 20, 11
	v_and_or_b32 v15, 0x8000, v15, v19
	v_and_b32_e32 v19, 0xffff, v20
	v_cndmask_b32_e64 v4, 0, 1, s0
	v_cmp_ne_u32_e64 s0, v16, v24
	v_cvt_f64_f32_e32 v[16:17], v17
	v_fma_f16 v11, v96, v23, -v11
	v_lshl_or_b32 v19, v15, 16, v19
	v_and_or_b32 v4, 0xffe, v22, v4
	v_cndmask_b32_e64 v24, 0, 1, s0
	v_sub_nc_u32_e32 v22, 0x3f1, v25
	v_cmp_gt_i32_e64 s0, 1, v21
	v_cvt_f32_f16_e32 v11, v11
	v_or_b32_e32 v27, 0x1000, v4
	v_or_b32_e32 v24, v26, v24
	v_lshl_or_b32 v26, v21, 12, v2
	v_med3_i32 v22, v22, 0, 13
	v_lshrrev_b32_e32 v5, 16, v5
	v_cndmask_b32_e64 v24, v26, v24, s0
	v_lshrrev_b32_e32 v20, v22, v27
	v_and_b32_e32 v23, 7, v24
	v_lshlrev_b32_e32 v22, v22, v20
	v_mul_f64 v[15:16], v[16:17], s[4:5]
	v_cvt_f64_f32_e32 v[17:18], v11
	v_cmp_lt_i32_e64 s0, 5, v23
	v_cmp_eq_u32_e64 s1, 3, v23
	v_lshrrev_b32_e32 v23, 2, v24
	v_cmp_ne_u32_e64 s2, v22, v27
	v_add_nc_u32_e32 v22, 0xfffffc10, v25
	s_or_b32 s0, s1, s0
	v_add_co_ci_u32_e64 v23, s0, 0, v23, s0
	v_cndmask_b32_e64 v11, 0, 1, s2
	v_cmp_ne_u32_e64 s0, 0, v2
	v_add_co_u32 v13, s2, v13, s10
	v_add_co_ci_u32_e64 v14, s2, s11, v14, s2
	v_or_b32_e32 v11, v20, v11
	v_lshl_or_b32 v20, v22, 12, v4
	v_cndmask_b32_e64 v2, 0, 1, s0
	v_cmp_gt_i32_e64 s0, 1, v22
	v_and_or_b32 v15, 0x1ff, v16, v15
	v_mul_f64 v[17:18], v[17:18], s[4:5]
	v_lshrrev_b32_e32 v25, 8, v16
	v_lshl_or_b32 v2, v2, 9, 0x7c00
	v_cndmask_b32_e64 v20, v20, v11, s0
	v_cmp_gt_i32_e64 s0, 31, v21
	v_bfe_u32 v26, v16, 20, 11
	ds_read2_b32 v[10:11], v10 offset0:156 offset1:212
	global_store_dword v[13:14], v19, off
	v_and_b32_e32 v24, 7, v20
	v_cndmask_b32_e64 v23, 0x7c00, v23, s0
	v_cmp_ne_u32_e64 s0, 0, v15
	v_lshrrev_b32_e32 v16, 16, v16
	v_cmp_eq_u32_e64 s1, 3, v24
	v_cndmask_b32_e64 v15, 0, 1, s0
	v_cmp_eq_u32_e64 s0, 0x40f, v21
	v_and_or_b32 v15, 0xffe, v25, v15
	v_cndmask_b32_e64 v21, v23, v2, s0
	v_cmp_lt_i32_e64 s0, 5, v24
	v_lshrrev_b32_e32 v23, 16, v3
	v_lshrrev_b32_e32 v3, 2, v20
	v_sub_nc_u32_e32 v2, 0x3f1, v26
	v_or_b32_e32 v20, 0x1000, v15
	s_or_b32 s0, s1, s0
	v_and_or_b32 v17, 0x1ff, v18, v17
	v_add_co_ci_u32_e64 v3, s0, 0, v3, s0
	v_med3_i32 v2, v2, 0, 13
	v_cmp_ne_u32_e64 s0, 0, v4
	s_waitcnt lgkmcnt(0)
	v_lshrrev_b32_e32 v24, 16, v10
	v_lshrrev_b32_e32 v28, 8, v18
	v_bfe_u32 v29, v18, 20, 11
	v_lshrrev_b32_e32 v25, v2, v20
	v_cndmask_b32_e64 v4, 0, 1, s0
	v_cmp_gt_i32_e64 s0, 31, v22
	v_and_or_b32 v21, 0x8000, v23, v21
	v_lshlrev_b32_e32 v2, v2, v25
	v_lshl_or_b32 v4, v4, 9, 0x7c00
	v_cndmask_b32_e64 v27, 0x7c00, v3, s0
	v_cmp_ne_u32_e64 s0, 0, v17
	v_mul_f16_sdwa v3, v95, v24 dst_sel:DWORD dst_unused:UNUSED_PAD src0_sel:WORD_1 src1_sel:DWORD
	v_and_b32_e32 v21, 0xffff, v21
	v_cndmask_b32_e64 v17, 0, 1, s0
	v_cmp_ne_u32_e64 s0, v2, v20
	v_add_nc_u32_e32 v20, 0xfffffc10, v26
	v_sub_nc_u32_e32 v26, 0x3f1, v29
	v_fmac_f16_e32 v3, v95, v10
	v_and_or_b32 v17, 0xffe, v28, v17
	v_cndmask_b32_e64 v2, 0, 1, s0
	v_cmp_eq_u32_e64 s0, 0x40f, v22
	v_lshl_or_b32 v28, v20, 12, v15
	v_med3_i32 v26, v26, 0, 13
	v_or_b32_e32 v30, 0x1000, v17
	v_or_b32_e32 v25, v25, v2
	v_cndmask_b32_e64 v4, v27, v4, s0
	v_cmp_gt_i32_e64 s0, 1, v20
	v_cvt_f32_f16_e32 v3, v3
	v_mul_f16_sdwa v10, v95, v10 dst_sel:DWORD dst_unused:UNUSED_PAD src0_sel:WORD_1 src1_sel:DWORD
	v_and_or_b32 v27, 0x8000, v5, v4
	v_cndmask_b32_e64 v22, v28, v25, s0
	v_lshrrev_b32_e32 v25, v26, v30
	v_cvt_f64_f32_e32 v[2:3], v3
	v_fma_f16 v4, v95, v24, -v10
	v_add_nc_u32_e32 v10, 0xfffffc10, v29
	v_and_b32_e32 v23, 7, v22
	v_lshlrev_b32_e32 v26, v26, v25
	v_lshrrev_b32_e32 v22, 2, v22
	v_cvt_f32_f16_e32 v4, v4
	v_lshl_or_b32 v24, v10, 12, v17
	v_cmp_lt_i32_e64 s0, 5, v23
	v_cmp_ne_u32_e64 s1, v26, v30
	v_lshl_or_b32 v19, v27, 16, v21
	v_cndmask_b32_e64 v5, 0, 1, s1
	v_cmp_eq_u32_e64 s1, 3, v23
	v_or_b32_e32 v23, v25, v5
	s_or_b32 s0, s1, s0
	v_cvt_f64_f32_e32 v[4:5], v4
	v_add_co_ci_u32_e64 v22, s0, 0, v22, s0
	v_cmp_ne_u32_e64 s0, 0, v15
	v_mul_f64 v[2:3], v[2:3], s[4:5]
	v_cndmask_b32_e64 v15, 0, 1, s0
	v_cmp_gt_i32_e64 s0, 1, v10
	v_lshl_or_b32 v15, v15, 9, 0x7c00
	v_cndmask_b32_e64 v23, v24, v23, s0
	v_cmp_gt_i32_e64 s0, 31, v20
	v_lshrrev_b32_e32 v24, 16, v12
	v_and_b32_e32 v21, 7, v23
	v_cndmask_b32_e64 v22, 0x7c00, v22, s0
	v_cmp_eq_u32_e64 s0, 0x40f, v20
	v_lshrrev_b32_e32 v20, 2, v23
	v_mul_f64 v[4:5], v[4:5], s[4:5]
	v_cmp_eq_u32_e64 s1, 3, v21
	v_cndmask_b32_e64 v15, v22, v15, s0
	v_cmp_lt_i32_e64 s0, 5, v21
	v_and_or_b32 v2, 0x1ff, v3, v2
	v_lshrrev_b32_e32 v21, 8, v3
	v_bfe_u32 v22, v3, 20, 11
	v_and_or_b32 v25, 0x8000, v16, v15
	s_or_b32 s0, s1, s0
	v_cmp_ne_u32_e64 s2, 0, v2
	v_add_co_ci_u32_e64 v20, s0, 0, v20, s0
	v_cmp_ne_u32_e64 s0, 0, v17
	v_cndmask_b32_e64 v2, 0, 1, s2
	v_cndmask_b32_e64 v17, 0, 1, s0
	v_cmp_gt_i32_e64 s0, 31, v10
	v_and_or_b32 v2, 0xffe, v21, v2
	v_sub_nc_u32_e32 v21, 0x3f1, v22
	v_and_or_b32 v4, 0x1ff, v5, v4
	v_lshl_or_b32 v17, v17, 9, 0x7c00
	v_cndmask_b32_e64 v20, 0x7c00, v20, s0
	v_cmp_eq_u32_e64 s0, 0x40f, v10
	v_or_b32_e32 v23, 0x1000, v2
	v_med3_i32 v21, v21, 0, 13
	v_add_nc_u32_e32 v22, 0xfffffc10, v22
	v_cndmask_b32_e64 v10, v20, v17, s0
	v_lshrrev_b32_e32 v17, 16, v18
	v_mul_f16_sdwa v18, v94, v24 dst_sel:DWORD dst_unused:UNUSED_PAD src0_sel:WORD_1 src1_sel:DWORD
	v_lshrrev_b32_e32 v20, v21, v23
	v_cmp_ne_u32_e64 s0, 0, v4
	v_and_or_b32 v10, 0x8000, v17, v10
	v_fmac_f16_e32 v18, v94, v12
	v_lshlrev_b32_e32 v15, v21, v20
	v_cndmask_b32_e64 v4, 0, 1, s0
	v_lshrrev_b32_e32 v17, 8, v5
	v_bfe_u32 v21, v5, 20, 11
	v_cvt_f32_f16_e32 v16, v18
	v_cmp_ne_u32_e64 s0, v15, v23
	v_and_b32_e32 v23, 0xffff, v25
	v_and_or_b32 v4, 0xffe, v17, v4
	v_sub_nc_u32_e32 v17, 0x3f1, v21
	v_cvt_f64_f32_e32 v[15:16], v16
	v_cndmask_b32_e64 v18, 0, 1, s0
	v_add_co_u32 v13, s0, v13, s6
	v_or_b32_e32 v25, 0x1000, v4
	v_med3_i32 v26, v17, 0, 13
	v_add_co_ci_u32_e64 v14, s0, s7, v14, s0
	v_or_b32_e32 v18, v20, v18
	v_lshl_or_b32 v20, v22, 12, v2
	v_lshl_or_b32 v10, v10, 16, v23
	v_cmp_gt_i32_e64 s0, 1, v22
	v_lshrrev_b32_e32 v23, v26, v25
	v_mul_f16_sdwa v12, v94, v12 dst_sel:DWORD dst_unused:UNUSED_PAD src0_sel:WORD_1 src1_sel:DWORD
	v_lshrrev_b32_e32 v5, 16, v5
	v_cndmask_b32_e64 v20, v20, v18, s0
	v_lshlrev_b32_e32 v26, v26, v23
	v_add_co_u32 v17, s0, v13, s10
	v_add_co_ci_u32_e64 v18, s0, s11, v14, s0
	v_and_b32_e32 v27, 7, v20
	v_cmp_ne_u32_e64 s1, v26, v25
	v_mul_f64 v[15:16], v[15:16], s[4:5]
	global_store_dword v[13:14], v19, off
	global_store_dword v[17:18], v10, off
	v_fma_f16 v10, v94, v24, -v12
	v_cmp_lt_i32_e64 s0, 5, v27
	v_cndmask_b32_e64 v12, 0, 1, s1
	v_cmp_eq_u32_e64 s1, 3, v27
	v_lshrrev_b32_e32 v19, 2, v20
	v_cvt_f32_f16_e32 v10, v10
	v_add_nc_u32_e32 v14, 0xfffffc10, v21
	v_or_b32_e32 v20, v23, v12
	s_or_b32 s0, s1, s0
	v_lshrrev_b32_e32 v24, 16, v11
	v_cvt_f64_f32_e32 v[12:13], v10
	v_add_co_ci_u32_e64 v10, s0, 0, v19, s0
	v_cmp_ne_u32_e64 s0, 0, v2
	v_lshl_or_b32 v21, v14, 12, v4
	v_cndmask_b32_e64 v2, 0, 1, s0
	v_cmp_gt_i32_e64 s0, 1, v14
	v_and_or_b32 v15, 0x1ff, v16, v15
	v_bfe_u32 v23, v16, 20, 11
	v_lshl_or_b32 v2, v2, 9, 0x7c00
	v_cndmask_b32_e64 v19, v21, v20, s0
	v_cmp_gt_i32_e64 s0, 31, v22
	v_lshrrev_b32_e32 v21, 8, v16
	v_lshrrev_b32_e32 v16, 16, v16
	v_and_b32_e32 v20, 7, v19
	v_cndmask_b32_e64 v10, 0x7c00, v10, s0
	v_cmp_ne_u32_e64 s0, 0, v15
	v_cmp_eq_u32_e64 s1, 3, v20
	v_cndmask_b32_e64 v15, 0, 1, s0
	v_cmp_eq_u32_e64 s0, 0x40f, v22
	v_lshrrev_b32_e32 v22, 16, v3
	v_and_or_b32 v15, 0xffe, v21, v15
	v_cndmask_b32_e64 v10, v10, v2, s0
	v_cmp_lt_i32_e64 s0, 5, v20
	v_mul_f64 v[2:3], v[12:13], s[4:5]
	v_lshrrev_b32_e32 v12, 2, v19
	v_sub_nc_u32_e32 v21, 0x3f1, v23
	v_or_b32_e32 v19, 0x1000, v15
	s_or_b32 s0, s1, s0
	v_mul_f16_sdwa v20, v93, v24 dst_sel:DWORD dst_unused:UNUSED_PAD src0_sel:WORD_1 src1_sel:DWORD
	v_add_co_ci_u32_e64 v12, s0, 0, v12, s0
	v_med3_i32 v13, v21, 0, 13
	v_cmp_ne_u32_e64 s0, 0, v4
	v_fmac_f16_e32 v20, v93, v11
	v_and_or_b32 v10, 0x8000, v22, v10
	v_mul_f16_sdwa v11, v93, v11 dst_sel:DWORD dst_unused:UNUSED_PAD src0_sel:WORD_1 src1_sel:DWORD
	v_lshrrev_b32_e32 v21, v13, v19
	v_cndmask_b32_e64 v4, 0, 1, s0
	v_cmp_gt_i32_e64 s0, 31, v14
	v_cvt_f32_f16_e32 v20, v20
	v_and_b32_e32 v10, 0xffff, v10
	v_lshlrev_b32_e32 v22, v13, v21
	v_lshl_or_b32 v4, v4, 9, 0x7c00
	v_cndmask_b32_e64 v12, 0x7c00, v12, s0
	v_cmp_eq_u32_e64 s0, 0x40f, v14
	v_and_or_b32 v2, 0x1ff, v3, v2
	v_cndmask_b32_e64 v4, v12, v4, s0
	v_cmp_ne_u32_e64 s0, v22, v19
	v_cvt_f64_f32_e32 v[12:13], v20
	v_lshrrev_b32_e32 v20, 8, v3
	v_bfe_u32 v22, v3, 20, 11
	v_add_nc_u32_e32 v19, 0xfffffc10, v23
	v_cndmask_b32_e64 v14, 0, 1, s0
	v_cmp_ne_u32_e64 s0, 0, v2
	v_and_or_b32 v4, 0x8000, v5, v4
	v_or_b32_e32 v5, v21, v14
	v_cndmask_b32_e64 v2, 0, 1, s0
	v_lshl_or_b32 v14, v19, 12, v15
	v_cmp_gt_i32_e64 s0, 1, v19
	v_lshl_or_b32 v23, v4, 16, v10
	v_and_or_b32 v2, 0xffe, v20, v2
	v_sub_nc_u32_e32 v20, 0x3f1, v22
	v_cndmask_b32_e64 v14, v14, v5, s0
	v_add_co_u32 v10, s0, v17, s6
	v_or_b32_e32 v21, 0x1000, v2
	v_med3_i32 v20, v20, 0, 13
	v_mul_f64 v[4:5], v[12:13], s[4:5]
	v_and_b32_e32 v12, 7, v14
	v_fma_f16 v13, v93, v24, -v11
	v_add_co_ci_u32_e64 v11, s0, s7, v18, s0
	v_lshrrev_b32_e32 v25, v20, v21
	v_cmp_lt_i32_e64 s0, 5, v12
	v_cmp_eq_u32_e64 s1, 3, v12
	v_lshrrev_b32_e32 v14, 2, v14
	v_cvt_f32_f16_e32 v12, v13
	v_lshlrev_b32_e32 v17, v20, v25
	v_add_nc_u32_e32 v18, 0xfffffc10, v22
	s_or_b32 s0, s1, s0
	global_store_dword v[10:11], v23, off
	v_add_co_ci_u32_e64 v14, s0, 0, v14, s0
	v_cmp_ne_u32_e64 s2, v17, v21
	v_cmp_ne_u32_e64 s0, 0, v15
	v_cvt_f64_f32_e32 v[12:13], v12
	v_lshl_or_b32 v20, v18, 12, v2
	v_cndmask_b32_e64 v17, 0, 1, s2
	v_and_or_b32 v4, 0x1ff, v5, v4
	v_cndmask_b32_e64 v15, 0, 1, s0
	v_cmp_gt_i32_e64 s0, 1, v18
	v_bfe_u32 v21, v5, 20, 11
	v_or_b32_e32 v17, v25, v17
	v_cmp_eq_u32_e64 s2, 0x40f, v19
	v_lshl_or_b32 v25, v15, 9, 0x7c00
	v_cndmask_b32_e64 v17, v20, v17, s0
	v_cmp_ne_u32_e64 s0, 0, v4
	v_lshrrev_b32_e32 v20, 8, v5
	v_and_b32_e32 v24, 7, v17
	v_cndmask_b32_e64 v4, 0, 1, s0
	v_cmp_gt_i32_e64 s0, 31, v19
	v_lshrrev_b32_e32 v17, 2, v17
	v_mul_f64 v[12:13], v[12:13], s[4:5]
	v_cmp_eq_u32_e64 s1, 3, v24
	v_and_or_b32 v4, 0xffe, v20, v4
	v_sub_nc_u32_e32 v20, 0x3f1, v21
	v_cndmask_b32_e64 v22, 0x7c00, v14, s0
	v_cmp_lt_i32_e64 s0, 5, v24
	ds_read2_b32 v[14:15], v9 offset0:80 offset1:136
	v_or_b32_e32 v26, 0x1000, v4
	v_med3_i32 v20, v20, 0, 13
	v_cndmask_b32_e64 v19, v22, v25, s2
	s_or_b32 s0, s1, s0
	v_add_nc_u32_e32 v21, 0xfffffc10, v21
	v_add_co_ci_u32_e64 v17, s0, 0, v17, s0
	v_lshrrev_b32_e32 v22, v20, v26
	v_cmp_ne_u32_e64 s0, 0, v2
	v_and_or_b32 v16, 0x8000, v16, v19
	v_lshlrev_b32_e32 v20, v20, v22
	v_cndmask_b32_e64 v2, 0, 1, s0
	v_cmp_gt_i32_e64 s0, 31, v18
	v_and_or_b32 v12, 0x1ff, v13, v12
	v_lshl_or_b32 v2, v2, 9, 0x7c00
	v_cndmask_b32_e64 v17, 0x7c00, v17, s0
	v_cmp_ne_u32_e64 s0, v20, v26
	s_waitcnt lgkmcnt(0)
	v_lshrrev_b32_e32 v24, 16, v14
	v_lshrrev_b32_e32 v26, 16, v3
	v_cndmask_b32_e64 v20, 0, 1, s0
	v_cmp_eq_u32_e64 s0, 0x40f, v18
	v_mul_f16_sdwa v25, v92, v24 dst_sel:DWORD dst_unused:UNUSED_PAD src0_sel:WORD_1 src1_sel:DWORD
	v_lshl_or_b32 v18, v21, 12, v4
	v_cndmask_b32_e64 v17, v17, v2, s0
	v_cmp_ne_u32_e64 s0, 0, v12
	v_or_b32_e32 v2, v22, v20
	v_lshrrev_b32_e32 v20, 8, v13
	v_bfe_u32 v22, v13, 20, 11
	v_fmac_f16_e32 v25, v92, v14
	v_cndmask_b32_e64 v12, 0, 1, s0
	v_cmp_gt_i32_e64 s0, 1, v21
	v_and_or_b32 v19, 0x8000, v26, v17
	v_mul_f16_sdwa v14, v92, v14 dst_sel:DWORD dst_unused:UNUSED_PAD src0_sel:WORD_1 src1_sel:DWORD
	v_cvt_f32_f16_e32 v25, v25
	v_and_or_b32 v12, 0xffe, v20, v12
	v_sub_nc_u32_e32 v20, 0x3f1, v22
	v_cndmask_b32_e64 v18, v18, v2, s0
	v_fma_f16 v14, v92, v24, -v14
	v_cvt_f64_f32_e32 v[2:3], v25
	v_or_b32_e32 v27, 0x1000, v12
	v_med3_i32 v20, v20, 0, 13
	v_and_b32_e32 v25, 7, v18
	v_cvt_f32_f16_e32 v14, v14
	v_add_nc_u32_e32 v22, 0xfffffc10, v22
	v_lshrrev_b32_e32 v13, 16, v13
	v_lshrrev_b32_e32 v23, v20, v27
	v_cmp_lt_i32_e64 s0, 5, v25
	v_cmp_eq_u32_e64 s1, 3, v25
	v_and_b32_e32 v25, 0xffff, v16
	v_lshrrev_b32_e32 v16, 2, v18
	v_lshlrev_b32_e32 v17, v20, v23
	s_or_b32 s0, s1, s0
	v_add_co_ci_u32_e64 v18, s0, 0, v16, s0
	v_cmp_ne_u32_e64 s0, v17, v27
	v_cvt_f64_f32_e32 v[16:17], v14
	v_mul_f64 v[2:3], v[2:3], s[4:5]
	v_cndmask_b32_e64 v20, 0, 1, s0
	v_cmp_ne_u32_e64 s0, 0, v4
	v_or_b32_e32 v14, v23, v20
	v_cndmask_b32_e64 v4, 0, 1, s0
	v_cmp_gt_i32_e64 s0, 31, v21
	v_lshl_or_b32 v20, v22, 12, v12
	v_lshl_or_b32 v4, v4, 9, 0x7c00
	v_cndmask_b32_e64 v18, 0x7c00, v18, s0
	v_cmp_gt_i32_e64 s0, 1, v22
	v_cndmask_b32_e64 v14, v20, v14, s0
	v_cmp_eq_u32_e64 s0, 0x40f, v21
	v_lshl_or_b32 v20, v19, 16, v25
	v_lshrrev_b32_e32 v19, 16, v5
	v_and_or_b32 v2, 0x1ff, v3, v2
	v_and_b32_e32 v21, 7, v14
	v_cndmask_b32_e64 v18, v18, v4, s0
	ds_read2_b32 v[4:5], v8 offset0:12 offset1:68
	v_add_co_u32 v10, s0, v10, s10
	v_mul_f64 v[16:17], v[16:17], s[4:5]
	v_cmp_ne_u32_e64 s2, 0, v2
	v_add_co_ci_u32_e64 v11, s0, s11, v11, s0
	v_cmp_lt_i32_e64 s0, 5, v21
	v_cmp_eq_u32_e64 s1, 3, v21
	v_lshrrev_b32_e32 v14, 2, v14
	v_and_or_b32 v23, 0x8000, v19, v18
	v_cndmask_b32_e64 v2, 0, 1, s2
	v_lshrrev_b32_e32 v18, 8, v3
	v_bfe_u32 v21, v3, 20, 11
	s_or_b32 s0, s1, s0
	global_store_dword v[10:11], v20, off
	v_add_co_ci_u32_e64 v14, s0, 0, v14, s0
	v_and_or_b32 v2, 0xffe, v18, v2
	v_sub_nc_u32_e32 v18, 0x3f1, v21
	s_waitcnt lgkmcnt(0)
	v_lshrrev_b32_e32 v24, 16, v4
	v_cmp_ne_u32_e64 s0, 0, v12
	v_add_nc_u32_e32 v21, 0xfffffc10, v21
	v_or_b32_e32 v25, 0x1000, v2
	v_med3_i32 v18, v18, 0, 13
	v_mul_f16_sdwa v19, v91, v24 dst_sel:DWORD dst_unused:UNUSED_PAD src0_sel:WORD_1 src1_sel:DWORD
	v_cndmask_b32_e64 v12, 0, 1, s0
	v_cmp_gt_i32_e64 s0, 31, v22
	v_and_or_b32 v16, 0x1ff, v17, v16
	v_lshrrev_b32_e32 v26, v18, v25
	v_fmac_f16_e32 v19, v91, v4
	v_lshl_or_b32 v12, v12, 9, 0x7c00
	v_cndmask_b32_e64 v14, 0x7c00, v14, s0
	v_cmp_eq_u32_e64 s0, 0x40f, v22
	v_lshrrev_b32_e32 v22, 8, v17
	v_bfe_u32 v27, v17, 20, 11
	v_mul_f16_sdwa v4, v91, v4 dst_sel:DWORD dst_unused:UNUSED_PAD src0_sel:WORD_1 src1_sel:DWORD
	v_cndmask_b32_e64 v12, v14, v12, s0
	v_lshlrev_b32_e32 v14, v18, v26
	v_cvt_f32_f16_e32 v18, v19
	v_cmp_ne_u32_e64 s0, 0, v16
	v_fma_f16 v4, v91, v24, -v4
	v_and_or_b32 v12, 0x8000, v13, v12
	v_cvt_f64_f32_e32 v[18:19], v18
	v_cndmask_b32_e64 v16, 0, 1, s0
	v_cmp_ne_u32_e64 s0, v14, v25
	v_lshl_or_b32 v25, v21, 12, v2
	v_cvt_f32_f16_e32 v4, v4
	v_and_or_b32 v16, 0xffe, v22, v16
	v_cndmask_b32_e64 v14, 0, 1, s0
	v_sub_nc_u32_e32 v22, 0x3f1, v27
	v_cmp_gt_i32_e64 s0, 1, v21
	v_or_b32_e32 v14, v26, v14
	v_or_b32_e32 v26, 0x1000, v16
	v_med3_i32 v13, v22, 0, 13
	v_and_b32_e32 v22, 0xffff, v23
	v_cndmask_b32_e64 v14, v25, v14, s0
	v_lshrrev_b32_e32 v23, v13, v26
	v_lshl_or_b32 v22, v12, 16, v22
	v_and_b32_e32 v20, 7, v14
	v_lshlrev_b32_e32 v24, v13, v23
	v_mul_f64 v[12:13], v[18:19], s[4:5]
	v_cvt_f64_f32_e32 v[18:19], v4
	v_cmp_lt_i32_e64 s0, 5, v20
	v_cmp_eq_u32_e64 s1, 3, v20
	v_lshrrev_b32_e32 v4, 2, v14
	v_cmp_ne_u32_e64 s2, v24, v26
	v_add_nc_u32_e32 v24, 0xfffffc10, v27
	v_lshrrev_b32_e32 v26, 16, v3
	s_or_b32 s0, s1, s0
	v_add_co_ci_u32_e64 v4, s0, 0, v4, s0
	v_cndmask_b32_e64 v20, 0, 1, s2
	v_cmp_ne_u32_e64 s0, 0, v2
	v_add_co_u32 v10, s2, v10, s6
	v_add_co_ci_u32_e64 v11, s2, s7, v11, s2
	v_or_b32_e32 v14, v23, v20
	v_lshl_or_b32 v20, v24, 12, v16
	v_cndmask_b32_e64 v2, 0, 1, s0
	v_cmp_gt_i32_e64 s0, 1, v24
	v_and_or_b32 v12, 0x1ff, v13, v12
	v_lshrrev_b32_e32 v23, 8, v13
	v_bfe_u32 v25, v13, 20, 11
	v_lshl_or_b32 v2, v2, 9, 0x7c00
	v_cndmask_b32_e64 v14, v20, v14, s0
	v_cmp_gt_i32_e64 s0, 31, v21
	v_mul_f64 v[18:19], v[18:19], s[4:5]
	global_store_dword v[10:11], v22, off
	v_and_b32_e32 v20, 7, v14
	v_cndmask_b32_e64 v4, 0x7c00, v4, s0
	v_cmp_ne_u32_e64 s0, 0, v12
	v_lshrrev_b32_e32 v14, 2, v14
	v_cmp_eq_u32_e64 s1, 3, v20
	v_cndmask_b32_e64 v12, 0, 1, s0
	v_cmp_eq_u32_e64 s0, 0x40f, v21
	v_lshrrev_b32_e32 v21, 16, v15
	v_and_or_b32 v12, 0xffe, v23, v12
	v_cndmask_b32_e64 v4, v4, v2, s0
	v_sub_nc_u32_e32 v2, 0x3f1, v25
	v_cmp_lt_i32_e64 s0, 5, v20
	v_mul_f16_sdwa v3, v90, v21 dst_sel:DWORD dst_unused:UNUSED_PAD src0_sel:WORD_1 src1_sel:DWORD
	v_or_b32_e32 v20, 0x1000, v12
	v_add_nc_u32_e32 v25, 0xfffffc10, v25
	v_med3_i32 v2, v2, 0, 13
	s_or_b32 s0, s1, s0
	v_and_or_b32 v18, 0x1ff, v19, v18
	v_add_co_ci_u32_e64 v14, s0, 0, v14, s0
	v_lshrrev_b32_e32 v23, v2, v20
	v_cmp_gt_i32_e64 s0, 31, v24
	v_fmac_f16_e32 v3, v90, v15
	v_lshrrev_b32_e32 v27, 8, v19
	v_bfe_u32 v28, v19, 20, 11
	v_lshlrev_b32_e32 v2, v2, v23
	v_cndmask_b32_e64 v14, 0x7c00, v14, s0
	v_cmp_ne_u32_e64 s0, 0, v16
	v_mul_f16_sdwa v15, v90, v15 dst_sel:DWORD dst_unused:UNUSED_PAD src0_sel:WORD_1 src1_sel:DWORD
	v_and_or_b32 v4, 0x8000, v26, v4
	v_lshrrev_b32_e32 v19, 16, v19
	v_cndmask_b32_e64 v16, 0, 1, s0
	v_cmp_ne_u32_e64 s0, v2, v20
	v_cvt_f32_f16_e32 v2, v3
	v_fma_f16 v15, v90, v21, -v15
	v_and_b32_e32 v4, 0xffff, v4
	v_lshl_or_b32 v16, v16, 9, 0x7c00
	v_cndmask_b32_e64 v20, 0, 1, s0
	v_cmp_ne_u32_e64 s0, 0, v18
	v_cvt_f64_f32_e32 v[2:3], v2
	v_cvt_f32_f16_e32 v15, v15
	v_or_b32_e32 v20, v23, v20
	v_cndmask_b32_e64 v18, 0, 1, s0
	v_lshl_or_b32 v23, v25, 12, v12
	v_cmp_gt_i32_e64 s0, 1, v25
	v_and_or_b32 v18, 0xffe, v27, v18
	v_sub_nc_u32_e32 v27, 0x3f1, v28
	v_cndmask_b32_e64 v20, v23, v20, s0
	v_cmp_eq_u32_e64 s0, 0x40f, v24
	v_or_b32_e32 v23, 0x1000, v18
	v_med3_i32 v27, v27, 0, 13
	v_cndmask_b32_e64 v14, v14, v16, s0
	v_lshrrev_b32_e32 v16, 16, v17
	v_and_b32_e32 v17, 7, v20
	v_lshrrev_b32_e32 v24, v27, v23
	v_mul_f64 v[2:3], v[2:3], s[4:5]
	v_and_or_b32 v16, 0x8000, v16, v14
	v_cmp_lt_i32_e64 s0, 5, v17
	v_lshlrev_b32_e32 v14, v27, v24
	v_cmp_eq_u32_e64 s1, 3, v17
	v_lshrrev_b32_e32 v17, 2, v20
	v_add_nc_u32_e32 v20, 0xfffffc10, v28
	v_lshl_or_b32 v16, v16, 16, v4
	v_cmp_ne_u32_e64 s2, v14, v23
	s_or_b32 s0, s1, s0
	v_add_co_ci_u32_e64 v17, s0, 0, v17, s0
	v_cndmask_b32_e64 v14, 0, 1, s2
	v_cmp_ne_u32_e64 s0, 0, v12
	v_lshl_or_b32 v21, v20, 12, v18
	v_or_b32_e32 v14, v24, v14
	v_cndmask_b32_e64 v12, 0, 1, s0
	v_cmp_gt_i32_e64 s0, 1, v20
	v_and_or_b32 v2, 0x1ff, v3, v2
	v_lshl_or_b32 v12, v12, 9, 0x7c00
	v_cndmask_b32_e64 v21, v21, v14, s0
	v_cvt_f64_f32_e32 v[14:15], v15
	v_cmp_gt_i32_e64 s0, 31, v25
	v_cmp_ne_u32_e64 s2, 0, v2
	v_and_b32_e32 v22, 7, v21
	v_cndmask_b32_e64 v17, 0x7c00, v17, s0
	v_cmp_eq_u32_e64 s0, 0x40f, v25
	v_cndmask_b32_e64 v2, 0, 1, s2
	v_cmp_eq_u32_e64 s1, 3, v22
	v_lshrrev_b32_e32 v25, 16, v13
	v_cndmask_b32_e64 v4, v17, v12, s0
	v_cmp_lt_i32_e64 s0, 5, v22
	v_lshrrev_b32_e32 v12, 2, v21
	v_lshrrev_b32_e32 v17, 8, v3
	v_bfe_u32 v21, v3, 20, 11
	v_lshrrev_b32_e32 v22, 16, v5
	s_or_b32 s0, s1, s0
	v_and_or_b32 v4, 0x8000, v25, v4
	v_and_or_b32 v2, 0xffe, v17, v2
	v_sub_nc_u32_e32 v17, 0x3f1, v21
	v_mul_f64 v[14:15], v[14:15], s[4:5]
	v_add_co_ci_u32_e64 v12, s0, 0, v12, s0
	v_cmp_ne_u32_e64 s0, 0, v18
	v_or_b32_e32 v24, 0x1000, v2
	v_med3_i32 v17, v17, 0, 13
	v_mul_f16_sdwa v23, v89, v22 dst_sel:DWORD dst_unused:UNUSED_PAD src0_sel:WORD_1 src1_sel:DWORD
	v_and_b32_e32 v4, 0xffff, v4
	v_cndmask_b32_e64 v18, 0, 1, s0
	v_cmp_gt_i32_e64 s0, 31, v20
	v_lshrrev_b32_e32 v26, v17, v24
	v_fmac_f16_e32 v23, v89, v5
	v_lshl_or_b32 v18, v18, 9, 0x7c00
	v_cndmask_b32_e64 v12, 0x7c00, v12, s0
	v_cmp_eq_u32_e64 s0, 0x40f, v20
	v_lshlrev_b32_e32 v17, v17, v26
	v_cvt_f32_f16_e32 v13, v23
	v_cndmask_b32_e64 v18, v12, v18, s0
	v_add_co_u32 v10, s0, v10, s10
	v_add_co_ci_u32_e64 v11, s0, s11, v11, s0
	v_and_or_b32 v14, 0x1ff, v15, v14
	v_cmp_ne_u32_e64 s0, v17, v24
	v_cvt_f64_f32_e32 v[12:13], v13
	v_and_or_b32 v18, 0x8000, v19, v18
	v_add_nc_u32_e32 v19, 0xfffffc10, v21
	v_lshrrev_b32_e32 v20, 8, v15
	v_cndmask_b32_e64 v17, 0, 1, s0
	v_cmp_ne_u32_e64 s0, 0, v14
	v_bfe_u32 v21, v15, 20, 11
	v_lshl_or_b32 v23, v19, 12, v2
	v_mul_f16_sdwa v24, v89, v5 dst_sel:DWORD dst_unused:UNUSED_PAD src0_sel:WORD_1 src1_sel:DWORD
	v_or_b32_e32 v17, v26, v17
	v_cndmask_b32_e64 v14, 0, 1, s0
	v_cmp_gt_i32_e64 s0, 1, v19
	v_lshl_or_b32 v18, v18, 16, v4
	v_fma_f16 v22, v89, v22, -v24
	v_lshrrev_b32_e32 v15, 16, v15
	v_and_or_b32 v14, 0xffe, v20, v14
	v_sub_nc_u32_e32 v20, 0x3f1, v21
	v_cndmask_b32_e64 v17, v23, v17, s0
	v_add_co_u32 v4, s0, v10, s6
	v_or_b32_e32 v23, 0x1000, v14
	v_med3_i32 v20, v20, 0, 13
	v_mul_f64 v[12:13], v[12:13], s[4:5]
	v_add_co_ci_u32_e64 v5, s0, s7, v11, s0
	v_and_b32_e32 v25, 7, v17
	v_lshrrev_b32_e32 v24, v20, v23
	global_store_dword v[10:11], v16, off
	global_store_dword v[4:5], v18, off
	v_cvt_f32_f16_e32 v10, v22
	v_lshrrev_b32_e32 v17, 2, v17
	v_cmp_lt_i32_e64 s0, 5, v25
	v_lshlrev_b32_e32 v16, v20, v24
	v_cmp_eq_u32_e64 s1, 3, v25
	v_cvt_f64_f32_e32 v[10:11], v10
	v_add_nc_u32_e32 v18, 0xfffffc10, v21
	v_lshrrev_b32_e32 v25, 16, v3
	v_cmp_ne_u32_e64 s2, v16, v23
	s_or_b32 s0, s1, s0
	v_add_co_ci_u32_e64 v17, s0, 0, v17, s0
	v_cndmask_b32_e64 v16, 0, 1, s2
	v_cmp_gt_i32_e64 s0, 31, v19
	v_lshl_or_b32 v21, v18, 12, v14
	v_and_or_b32 v12, 0x1ff, v13, v12
	v_bfe_u32 v23, v13, 20, 11
	v_or_b32_e32 v20, v24, v16
	v_cndmask_b32_e64 v22, 0x7c00, v17, s0
	v_cmp_gt_i32_e64 s0, 1, v18
	ds_read2_b32 v[16:17], v9 offset0:192 offset1:248
	v_cmp_eq_u32_e64 s2, 0x40f, v19
	v_cndmask_b32_e64 v20, v21, v20, s0
	v_cmp_ne_u32_e64 s0, 0, v12
	v_lshrrev_b32_e32 v21, 8, v13
	v_mul_f64 v[9:10], v[10:11], s[4:5]
	v_sub_nc_u32_e32 v11, 0x3f1, v23
	v_and_b32_e32 v24, 7, v20
	v_cndmask_b32_e64 v12, 0, 1, s0
	v_cmp_ne_u32_e64 s0, 0, v2
	v_add_nc_u32_e32 v23, 0xfffffc10, v23
	v_med3_i32 v11, v11, 0, 13
	v_cmp_eq_u32_e64 s1, 3, v24
	v_and_or_b32 v21, 0xffe, v21, v12
	v_cndmask_b32_e64 v2, 0, 1, s0
	v_cmp_lt_i32_e64 s0, 5, v24
	v_lshrrev_b32_e32 v13, 16, v13
	v_or_b32_e32 v12, 0x1000, v21
	v_lshl_or_b32 v2, v2, 9, 0x7c00
	s_or_b32 s0, s1, s0
	v_cndmask_b32_e64 v19, v22, v2, s2
	v_lshrrev_b32_e32 v2, 2, v20
	v_lshrrev_b32_e32 v22, v11, v12
	s_waitcnt lgkmcnt(0)
	v_lshrrev_b32_e32 v20, 16, v16
	v_bfe_u32 v26, v10, 20, 11
	v_and_or_b32 v19, 0x8000, v25, v19
	v_add_co_ci_u32_e64 v2, s0, 0, v2, s0
	v_lshlrev_b32_e32 v3, v11, v22
	v_cmp_gt_i32_e64 s0, 31, v18
	v_mul_f16_sdwa v24, v88, v20 dst_sel:DWORD dst_unused:UNUSED_PAD src0_sel:WORD_1 src1_sel:DWORD
	v_cndmask_b32_e64 v11, 0x7c00, v2, s0
	v_and_or_b32 v2, 0x1ff, v10, v9
	v_cmp_ne_u32_e64 s0, v3, v12
	v_fmac_f16_e32 v24, v88, v16
	v_mul_f16_sdwa v16, v88, v16 dst_sel:DWORD dst_unused:UNUSED_PAD src0_sel:WORD_1 src1_sel:DWORD
	v_cndmask_b32_e64 v9, 0, 1, s0
	v_cmp_ne_u32_e64 s0, 0, v2
	v_cvt_f32_f16_e32 v3, v24
	v_lshrrev_b32_e32 v24, 8, v10
	v_lshrrev_b32_e32 v10, 16, v10
	v_or_b32_e32 v9, v22, v9
	v_cndmask_b32_e64 v12, 0, 1, s0
	v_cmp_ne_u32_e64 s0, 0, v14
	v_lshl_or_b32 v22, v23, 12, v21
	v_cvt_f64_f32_e32 v[2:3], v3
	v_and_or_b32 v24, 0xffe, v24, v12
	v_cndmask_b32_e64 v14, 0, 1, s0
	v_sub_nc_u32_e32 v12, 0x3f1, v26
	v_cmp_gt_i32_e64 s0, 1, v23
	v_or_b32_e32 v27, 0x1000, v24
	v_lshl_or_b32 v14, v14, 9, 0x7c00
	v_med3_i32 v12, v12, 0, 13
	v_cndmask_b32_e64 v9, v22, v9, s0
	v_cmp_eq_u32_e64 s0, 0x40f, v18
	v_and_b32_e32 v18, 7, v9
	v_cndmask_b32_e64 v11, v11, v14, s0
	v_lshrrev_b32_e32 v14, v12, v27
	v_lshrrev_b32_e32 v9, 2, v9
	v_cmp_lt_i32_e64 s0, 5, v18
	v_and_or_b32 v15, 0x8000, v15, v11
	v_lshlrev_b32_e32 v12, v12, v14
	v_fma_f16 v11, v88, v20, -v16
	v_mul_f64 v[2:3], v[2:3], s[4:5]
	v_add_nc_u32_e32 v16, 0xfffffc10, v26
	v_cmp_ne_u32_e64 s1, v12, v27
	v_cvt_f32_f16_e32 v11, v11
	v_cndmask_b32_e64 v12, 0, 1, s1
	v_cmp_eq_u32_e64 s1, 3, v18
	v_lshl_or_b32 v18, v16, 12, v24
	v_or_b32_e32 v14, v14, v12
	s_or_b32 s0, s1, s0
	v_cvt_f64_f32_e32 v[11:12], v11
	v_add_co_ci_u32_e64 v9, s0, 0, v9, s0
	v_cmp_ne_u32_e64 s0, 0, v21
	v_and_or_b32 v2, 0x1ff, v3, v2
	v_cndmask_b32_e64 v20, 0, 1, s0
	v_cmp_gt_i32_e64 s0, 1, v16
	v_cmp_ne_u32_e64 s2, 0, v2
	v_cndmask_b32_e64 v14, v18, v14, s0
	v_cmp_gt_i32_e64 s0, 31, v23
	v_and_b32_e32 v18, 0xffff, v19
	v_lshl_or_b32 v19, v20, 9, 0x7c00
	v_cndmask_b32_e64 v2, 0, 1, s2
	v_and_b32_e32 v20, 7, v14
	v_cndmask_b32_e64 v9, 0x7c00, v9, s0
	v_cmp_eq_u32_e64 s0, 0x40f, v23
	v_lshl_or_b32 v18, v15, 16, v18
	v_mul_f64 v[11:12], v[11:12], s[4:5]
	v_cmp_eq_u32_e64 s1, 3, v20
	v_lshrrev_b32_e32 v14, 2, v14
	v_cndmask_b32_e64 v15, v9, v19, s0
	v_cmp_lt_i32_e64 s0, 5, v20
	ds_read2_b32 v[8:9], v8 offset0:124 offset1:180
	v_lshrrev_b32_e32 v19, 8, v3
	v_bfe_u32 v20, v3, 20, 11
	v_and_or_b32 v13, 0x8000, v13, v15
	s_or_b32 s0, s1, s0
	v_add_co_ci_u32_e64 v14, s0, 0, v14, s0
	v_cmp_ne_u32_e64 s0, 0, v24
	v_and_or_b32 v2, 0xffe, v19, v2
	v_sub_nc_u32_e32 v19, 0x3f1, v20
	v_add_nc_u32_e32 v20, 0xfffffc10, v20
	v_and_b32_e32 v13, 0xffff, v13
	v_cndmask_b32_e64 v21, 0, 1, s0
	v_cmp_gt_i32_e64 s0, 31, v16
	v_or_b32_e32 v22, 0x1000, v2
	v_med3_i32 v19, v19, 0, 13
	v_and_or_b32 v11, 0x1ff, v12, v11
	v_lshl_or_b32 v21, v21, 9, 0x7c00
	v_cndmask_b32_e64 v14, 0x7c00, v14, s0
	v_cmp_eq_u32_e64 s0, 0x40f, v16
	v_lshrrev_b32_e32 v16, v19, v22
	v_bfe_u32 v23, v12, 20, 11
	v_cndmask_b32_e64 v14, v14, v21, s0
	s_waitcnt lgkmcnt(0)
	v_lshrrev_b32_e32 v21, 16, v8
	v_cmp_ne_u32_e64 s0, 0, v11
	v_and_or_b32 v14, 0x8000, v10, v14
	v_lshlrev_b32_e32 v10, v19, v16
	v_mul_f16_sdwa v15, v87, v21 dst_sel:DWORD dst_unused:UNUSED_PAD src0_sel:WORD_1 src1_sel:DWORD
	v_cndmask_b32_e64 v11, 0, 1, s0
	v_lshrrev_b32_e32 v19, 8, v12
	v_lshl_or_b32 v26, v14, 16, v13
	v_cmp_ne_u32_e64 s0, v10, v22
	v_fmac_f16_e32 v15, v87, v8
	v_lshl_or_b32 v22, v20, 12, v2
	v_and_or_b32 v19, 0xffe, v19, v11
	v_sub_nc_u32_e32 v11, 0x3f1, v23
	v_cndmask_b32_e64 v10, 0, 1, s0
	v_cvt_f32_f16_e32 v15, v15
	v_cmp_gt_i32_e64 s0, 1, v20
	v_or_b32_e32 v24, 0x1000, v19
	v_med3_i32 v25, v11, 0, 13
	v_or_b32_e32 v16, v16, v10
	v_cvt_f64_f32_e32 v[10:11], v15
	v_mul_f16_sdwa v8, v87, v8 dst_sel:DWORD dst_unused:UNUSED_PAD src0_sel:WORD_1 src1_sel:DWORD
	v_add_nc_u32_e32 v23, 0xfffffc10, v23
	v_lshrrev_b32_e32 v12, 16, v12
	v_cndmask_b32_e64 v15, v22, v16, s0
	v_lshrrev_b32_e32 v22, v25, v24
	v_add_co_u32 v4, s0, v4, s10
	v_add_co_ci_u32_e64 v5, s0, s11, v5, s0
	v_lshlrev_b32_e32 v25, v25, v22
	v_and_b32_e32 v16, 7, v15
	v_fma_f16 v8, v87, v21, -v8
	v_add_co_u32 v13, s0, v4, s6
	v_cmp_ne_u32_e64 s1, v25, v24
	v_add_co_ci_u32_e64 v14, s0, s7, v5, s0
	v_cmp_lt_i32_e64 s0, 5, v16
	v_cvt_f32_f16_e32 v8, v8
	v_cndmask_b32_e64 v21, 0, 1, s1
	v_cmp_eq_u32_e64 s1, 3, v16
	v_lshrrev_b32_e32 v24, 2, v15
	v_mul_f64 v[10:11], v[10:11], s[4:5]
	v_cvt_f64_f32_e32 v[15:16], v8
	v_or_b32_e32 v8, v22, v21
	s_or_b32 s0, s1, s0
	v_lshl_or_b32 v21, v23, 12, v19
	v_add_co_ci_u32_e64 v22, s0, 0, v24, s0
	v_cmp_ne_u32_e64 s0, 0, v2
	global_store_dword v[4:5], v18, off
	global_store_dword v[13:14], v26, off
	v_cndmask_b32_e64 v2, 0, 1, s0
	v_cmp_gt_i32_e64 s0, 1, v23
	v_lshl_or_b32 v2, v2, 9, 0x7c00
	v_cndmask_b32_e64 v8, v21, v8, s0
	v_cmp_gt_i32_e64 s0, 31, v20
	v_and_b32_e32 v4, 7, v8
	v_cndmask_b32_e64 v21, 0x7c00, v22, s0
	v_cmp_eq_u32_e64 s0, 0x40f, v20
	v_lshrrev_b32_e32 v8, 2, v8
	v_lshrrev_b32_e32 v22, 16, v17
	v_cmp_eq_u32_e64 s1, 3, v4
	v_cndmask_b32_e64 v18, v21, v2, s0
	v_and_or_b32 v2, 0x1ff, v11, v10
	v_cmp_lt_i32_e64 s0, 5, v4
	v_mul_f64 v[4:5], v[15:16], s[4:5]
	v_lshrrev_b32_e32 v10, 8, v11
	v_bfe_u32 v15, v11, 20, 11
	v_cmp_ne_u32_e64 s2, 0, v2
	s_or_b32 s0, s1, s0
	v_lshrrev_b32_e32 v21, 16, v3
	v_add_co_ci_u32_e64 v8, s0, 0, v8, s0
	v_cndmask_b32_e64 v2, 0, 1, s2
	v_cmp_ne_u32_e64 s0, 0, v19
	v_and_or_b32 v18, 0x8000, v21, v18
	v_lshrrev_b32_e32 v11, 16, v11
	v_and_or_b32 v10, 0xffe, v10, v2
	v_cndmask_b32_e64 v16, 0, 1, s0
	v_sub_nc_u32_e32 v2, 0x3f1, v15
	v_cmp_gt_i32_e64 s0, 31, v23
	v_or_b32_e32 v19, 0x1000, v10
	v_lshl_or_b32 v16, v16, 9, 0x7c00
	v_med3_i32 v20, v2, 0, 13
	v_cndmask_b32_e64 v8, 0x7c00, v8, s0
	v_cmp_eq_u32_e64 s0, 0x40f, v23
	v_and_or_b32 v4, 0x1ff, v5, v4
	v_mul_f16_sdwa v23, v86, v22 dst_sel:DWORD dst_unused:UNUSED_PAD src0_sel:WORD_1 src1_sel:DWORD
	v_lshrrev_b32_e32 v24, 8, v5
	v_bfe_u32 v25, v5, 20, 11
	v_cndmask_b32_e64 v8, v8, v16, s0
	v_lshrrev_b32_e32 v16, v20, v19
	v_cmp_ne_u32_e64 s0, 0, v4
	v_fmac_f16_e32 v23, v86, v17
	v_mad_u64_u32 v[2:3], null, s8, v85, 0
	v_lshlrev_b32_e32 v20, v20, v16
	v_cndmask_b32_e64 v4, 0, 1, s0
	v_and_or_b32 v8, 0x8000, v12, v8
	v_mul_f16_sdwa v17, v86, v17 dst_sel:DWORD dst_unused:UNUSED_PAD src0_sel:WORD_1 src1_sel:DWORD
	v_lshrrev_b32_e32 v5, 16, v5
	v_cmp_ne_u32_e64 s0, v20, v19
	v_add_nc_u32_e32 v20, 0xfffffc10, v15
	v_cvt_f32_f16_e32 v15, v23
	v_and_or_b32 v24, 0xffe, v24, v4
	v_sub_nc_u32_e32 v4, 0x3f1, v25
	v_cndmask_b32_e64 v19, 0, 1, s0
	v_lshl_or_b32 v23, v20, 12, v10
	v_cmp_gt_i32_e64 s0, 1, v20
	v_or_b32_e32 v26, 0x1000, v24
	v_med3_i32 v27, v4, 0, 13
	v_or_b32_e32 v19, v16, v19
	v_cvt_f64_f32_e32 v[15:16], v15
	v_mad_u64_u32 v[3:4], null, s9, v85, v[3:4]
	v_lshrrev_b32_e32 v21, v27, v26
	v_cndmask_b32_e64 v19, v23, v19, s0
	v_and_b32_e32 v23, 0xffff, v18
	v_fma_f16 v17, v86, v22, -v17
	v_lshlrev_b32_e32 v4, v27, v21
	v_and_b32_e32 v12, 7, v19
	v_lshlrev_b64 v[2:3], 2, v[2:3]
	v_cvt_f32_f16_e32 v17, v17
	v_lshl_or_b32 v8, v8, 16, v23
	v_cmp_ne_u32_e64 s2, v4, v26
	v_cmp_lt_i32_e64 s0, 5, v12
	v_cmp_eq_u32_e64 s1, 3, v12
	v_lshrrev_b32_e32 v12, 2, v19
	v_add_nc_u32_e32 v19, 0xfffffc10, v25
	v_cndmask_b32_e64 v4, 0, 1, s2
	s_or_b32 s0, s1, s0
	v_add_co_ci_u32_e64 v12, s0, 0, v12, s0
	v_cmp_ne_u32_e64 s0, 0, v10
	v_mul_f64 v[15:16], v[15:16], s[4:5]
	v_or_b32_e32 v4, v21, v4
	v_lshl_or_b32 v18, v19, 12, v24
	v_cndmask_b32_e64 v10, 0, 1, s0
	v_cmp_gt_i32_e64 s0, 1, v19
	v_lshl_or_b32 v10, v10, 9, 0x7c00
	v_cndmask_b32_e64 v4, v18, v4, s0
	v_cmp_gt_i32_e64 s0, 31, v20
	v_cvt_f64_f32_e32 v[17:18], v17
	v_and_b32_e32 v21, 7, v4
	v_cndmask_b32_e64 v12, 0x7c00, v12, s0
	v_cmp_eq_u32_e64 s0, 0x40f, v20
	v_lshrrev_b32_e32 v4, 2, v4
	v_cmp_eq_u32_e64 s1, 3, v21
	v_cndmask_b32_e64 v10, v12, v10, s0
	v_cmp_lt_i32_e64 s0, 5, v21
	v_and_or_b32 v12, 0x1ff, v16, v15
	v_lshrrev_b32_e32 v20, 8, v16
	v_bfe_u32 v21, v16, 20, 11
	v_and_or_b32 v15, 0x8000, v11, v10
	s_or_b32 s0, s1, s0
	v_add_co_ci_u32_e64 v4, s0, 0, v4, s0
	v_cmp_ne_u32_e64 s0, 0, v12
	v_and_b32_e32 v15, 0xffff, v15
	v_mul_f64 v[10:11], v[17:18], s[4:5]
	v_cndmask_b32_e64 v12, 0, 1, s0
	v_cmp_ne_u32_e64 s0, 0, v24
	v_and_or_b32 v17, 0xffe, v20, v12
	v_cndmask_b32_e64 v22, 0, 1, s0
	v_sub_nc_u32_e32 v12, 0x3f1, v21
	v_cmp_gt_i32_e64 s0, 31, v19
	v_or_b32_e32 v20, 0x1000, v17
	v_lshl_or_b32 v18, v22, 9, 0x7c00
	v_lshrrev_b32_e32 v22, 16, v9
	v_cndmask_b32_e64 v4, 0x7c00, v4, s0
	v_med3_i32 v12, v12, 0, 13
	v_cmp_eq_u32_e64 s0, 0x40f, v19
	v_mul_f16_sdwa v19, v84, v22 dst_sel:DWORD dst_unused:UNUSED_PAD src0_sel:WORD_1 src1_sel:DWORD
	v_and_or_b32 v10, 0x1ff, v11, v10
	v_cndmask_b32_e64 v4, v4, v18, s0
	v_lshrrev_b32_e32 v18, v12, v20
	v_fmac_f16_e32 v19, v84, v9
	v_add_co_u32 v0, s0, v0, v2
	v_and_or_b32 v23, 0x8000, v5, v4
	v_lshlrev_b32_e32 v4, v12, v18
	v_cvt_f32_f16_e32 v5, v19
	v_add_co_ci_u32_e64 v1, s0, v1, v3, s0
	v_mad_u64_u32 v[2:3], null, 0xe0, s8, v[13:14]
	v_cmp_ne_u32_e64 s0, v4, v20
	v_cvt_f64_f32_e32 v[4:5], v5
	v_lshrrev_b32_e32 v13, 8, v11
	v_bfe_u32 v14, v11, 20, 11
	v_add_nc_u32_e32 v19, 0xfffffc10, v21
	v_cndmask_b32_e64 v12, 0, 1, s0
	v_cmp_ne_u32_e64 s0, 0, v10
	global_store_dword v[0:1], v8, off
	v_sub_nc_u32_e32 v20, 0x3f1, v14
	v_lshl_or_b32 v21, v19, 12, v17
	v_or_b32_e32 v18, v18, v12
	v_cndmask_b32_e64 v10, 0, 1, s0
	v_cmp_gt_i32_e64 s0, 1, v19
	v_med3_i32 v20, v20, 0, 13
	v_lshrrev_b32_e32 v11, 16, v11
	v_lshl_or_b32 v15, v23, 16, v15
	v_and_or_b32 v10, 0xffe, v13, v10
	v_cndmask_b32_e64 v18, v21, v18, s0
	v_and_b32_e32 v21, 7, v18
	v_mad_u64_u32 v[12:13], null, 0xe0, s9, v[3:4]
	v_or_b32_e32 v13, 0x1000, v10
	v_mul_f64 v[0:1], v[4:5], s[4:5]
	v_mul_f16_sdwa v5, v84, v9 dst_sel:DWORD dst_unused:UNUSED_PAD src0_sel:WORD_1 src1_sel:DWORD
	v_cmp_lt_i32_e64 s0, 5, v21
	v_cmp_eq_u32_e64 s1, 3, v21
	v_lshrrev_b32_e32 v8, v20, v13
	v_lshrrev_b32_e32 v9, 2, v18
	v_fma_f16 v5, v84, v22, -v5
	v_mov_b32_e32 v3, v12
	s_or_b32 s0, s1, s0
	v_lshlrev_b32_e32 v4, v20, v8
	v_add_co_ci_u32_e64 v9, s0, 0, v9, s0
	v_cvt_f32_f16_e32 v5, v5
	v_add_nc_u32_e32 v12, 0xfffffc10, v14
	v_cmp_ne_u32_e64 s2, v4, v13
	v_cmp_ne_u32_e64 s0, 0, v17
	global_store_dword v[2:3], v15, off
	v_lshl_or_b32 v13, v12, 12, v10
	v_cndmask_b32_e64 v4, 0, 1, s2
	v_cndmask_b32_e64 v14, 0, 1, s0
	v_cmp_gt_i32_e64 s0, 1, v12
	v_and_or_b32 v0, 0x1ff, v1, v0
	v_lshrrev_b32_e32 v18, 8, v1
	v_or_b32_e32 v8, v8, v4
	v_cvt_f64_f32_e32 v[4:5], v5
	v_lshl_or_b32 v14, v14, 9, 0x7c00
	v_bfe_u32 v20, v1, 20, 11
	v_cndmask_b32_e64 v13, v13, v8, s0
	v_cmp_gt_i32_e64 s0, 31, v19
	ds_read2_b32 v[7:8], v7 offset0:48 offset1:104
	v_and_b32_e32 v17, 7, v13
	v_cndmask_b32_e64 v9, 0x7c00, v9, s0
	v_cmp_ne_u32_e64 s0, 0, v0
	v_lshrrev_b32_e32 v13, 2, v13
	v_cmp_eq_u32_e64 s1, 3, v17
	v_cndmask_b32_e64 v0, 0, 1, s0
	v_cmp_eq_u32_e64 s0, 0x40f, v19
	v_and_or_b32 v0, 0xffe, v18, v0
	v_cndmask_b32_e64 v9, v9, v14, s0
	v_cmp_lt_i32_e64 s0, 5, v17
	v_mul_f64 v[4:5], v[4:5], s[4:5]
	v_lshrrev_b32_e32 v14, 16, v16
	v_sub_nc_u32_e32 v16, 0x3f1, v20
	v_or_b32_e32 v17, 0x1000, v0
	s_or_b32 s0, s1, s0
	s_waitcnt lgkmcnt(0)
	v_lshrrev_b32_e32 v18, 16, v7
	v_add_co_ci_u32_e64 v13, s0, 0, v13, s0
	v_med3_i32 v16, v16, 0, 13
	v_cmp_ne_u32_e64 s0, 0, v10
	v_mul_f16_sdwa v21, v83, v18 dst_sel:DWORD dst_unused:UNUSED_PAD src0_sel:WORD_1 src1_sel:DWORD
	v_and_or_b32 v14, 0x8000, v14, v9
	v_lshrrev_b32_e32 v19, v16, v17
	v_cndmask_b32_e64 v10, 0, 1, s0
	v_cmp_gt_i32_e64 s0, 31, v12
	v_fmac_f16_e32 v21, v83, v7
	v_and_b32_e32 v14, 0xffff, v14
	v_lshlrev_b32_e32 v9, v16, v19
	v_lshl_or_b32 v10, v10, 9, 0x7c00
	v_cndmask_b32_e64 v13, 0x7c00, v13, s0
	v_cmp_eq_u32_e64 s0, 0x40f, v12
	v_and_or_b32 v4, 0x1ff, v5, v4
	v_add_nc_u32_e32 v16, 0xfffffc10, v20
	v_mul_f16_sdwa v7, v83, v7 dst_sel:DWORD dst_unused:UNUSED_PAD src0_sel:WORD_1 src1_sel:DWORD
	v_cndmask_b32_e64 v12, v13, v10, s0
	v_cmp_ne_u32_e64 s0, v9, v17
	v_cvt_f32_f16_e32 v10, v21
	v_lshrrev_b32_e32 v17, 8, v5
	v_fma_f16 v7, v83, v18, -v7
	v_and_or_b32 v11, 0x8000, v11, v12
	v_cndmask_b32_e64 v13, 0, 1, s0
	v_cmp_ne_u32_e64 s0, 0, v4
	v_cvt_f64_f32_e32 v[9:10], v10
	v_lshl_or_b32 v11, v11, 16, v14
	v_or_b32_e32 v12, v19, v13
	v_lshl_or_b32 v13, v16, 12, v0
	v_cndmask_b32_e64 v4, 0, 1, s0
	v_bfe_u32 v19, v5, 20, 11
	v_cmp_gt_i32_e64 s0, 1, v16
	v_lshrrev_b32_e32 v5, 16, v5
	v_and_or_b32 v4, 0xffe, v17, v4
	v_cndmask_b32_e64 v12, v13, v12, s0
	v_sub_nc_u32_e32 v13, 0x3f1, v19
	v_add_co_u32 v2, s0, v2, s10
	v_or_b32_e32 v15, 0x1000, v4
	v_and_b32_e32 v14, 7, v12
	v_med3_i32 v13, v13, 0, 13
	v_add_co_ci_u32_e64 v3, s0, s11, v3, s0
	v_cmp_lt_i32_e64 s0, 5, v14
	v_lshrrev_b32_e32 v17, v13, v15
	v_cmp_eq_u32_e64 s1, 3, v14
	v_mul_f64 v[9:10], v[9:10], s[4:5]
	global_store_dword v[2:3], v11, off
	v_lshrrev_b32_e32 v11, 2, v12
	v_lshlrev_b32_e32 v12, v13, v17
	s_or_b32 s0, s1, s0
	v_add_co_u32 v2, s2, v2, s6
	v_add_co_ci_u32_e64 v13, s0, 0, v11, s0
	v_cmp_ne_u32_e64 s0, v12, v15
	v_cvt_f32_f16_e32 v11, v7
	v_add_nc_u32_e32 v15, 0xfffffc10, v19
	ds_read2_b32 v[6:7], v6 offset0:108 offset1:164
	v_add_co_ci_u32_e64 v3, s2, s7, v3, s2
	v_cndmask_b32_e64 v14, 0, 1, s0
	v_cmp_ne_u32_e64 s0, 0, v0
	v_cvt_f64_f32_e32 v[11:12], v11
	v_or_b32_e32 v14, v17, v14
	v_cndmask_b32_e64 v0, 0, 1, s0
	v_cmp_gt_i32_e64 s0, 31, v16
	v_lshl_or_b32 v17, v15, 12, v4
	v_and_or_b32 v9, 0x1ff, v10, v9
	v_bfe_u32 v18, v10, 20, 11
	v_lshl_or_b32 v0, v0, 9, 0x7c00
	v_cndmask_b32_e64 v13, 0x7c00, v13, s0
	v_cmp_gt_i32_e64 s0, 1, v15
	v_sub_nc_u32_e32 v19, 0x3f1, v18
	v_add_nc_u32_e32 v18, 0xfffffc10, v18
	s_waitcnt lgkmcnt(0)
	v_lshrrev_b32_e32 v20, 16, v6
	v_cndmask_b32_e64 v14, v17, v14, s0
	v_cmp_ne_u32_e64 s0, 0, v9
	v_lshrrev_b32_e32 v17, 8, v10
	v_lshrrev_b32_e32 v10, 16, v10
	v_cndmask_b32_e64 v9, 0, 1, s0
	v_cmp_eq_u32_e64 s0, 0x40f, v16
	v_and_b32_e32 v16, 7, v14
	v_lshrrev_b32_e32 v14, 2, v14
	v_and_or_b32 v9, 0xffe, v17, v9
	v_cndmask_b32_e64 v13, v13, v0, s0
	v_cmp_lt_i32_e64 s0, 5, v16
	v_cmp_eq_u32_e64 s1, 3, v16
	v_lshrrev_b32_e32 v17, 16, v1
	v_mul_f64 v[0:1], v[11:12], s[4:5]
	v_or_b32_e32 v21, 0x1000, v9
	v_med3_i32 v11, v19, 0, 13
	v_mul_f16_sdwa v12, v82, v20 dst_sel:DWORD dst_unused:UNUSED_PAD src0_sel:WORD_1 src1_sel:DWORD
	s_or_b32 s0, s1, s0
	v_and_or_b32 v13, 0x8000, v17, v13
	v_add_co_ci_u32_e64 v14, s0, 0, v14, s0
	v_lshrrev_b32_e32 v16, v11, v21
	v_cmp_ne_u32_e64 s0, 0, v4
	v_fmac_f16_e32 v12, v82, v6
	v_and_b32_e32 v13, 0xffff, v13
	v_mul_f16_sdwa v6, v82, v6 dst_sel:DWORD dst_unused:UNUSED_PAD src0_sel:WORD_1 src1_sel:DWORD
	v_lshlrev_b32_e32 v17, v11, v16
	v_cndmask_b32_e64 v4, 0, 1, s0
	v_cmp_gt_i32_e64 s0, 31, v15
	v_cvt_f32_f16_e32 v12, v12
	v_fma_f16 v6, v82, v20, -v6
	v_lshl_or_b32 v4, v4, 9, 0x7c00
	v_cndmask_b32_e64 v14, 0x7c00, v14, s0
	v_cmp_ne_u32_e64 s0, v17, v21
	v_cvt_f64_f32_e32 v[11:12], v12
	v_and_or_b32 v0, 0x1ff, v1, v0
	v_cvt_f32_f16_e32 v6, v6
	v_cndmask_b32_e64 v17, 0, 1, s0
	v_cmp_eq_u32_e64 s0, 0x40f, v15
	v_lshl_or_b32 v15, v18, 12, v9
	v_cndmask_b32_e64 v4, v14, v4, s0
	v_cmp_ne_u32_e64 s0, 0, v0
	v_or_b32_e32 v14, v16, v17
	v_lshrrev_b32_e32 v16, 8, v1
	v_bfe_u32 v17, v1, 20, 11
	v_cndmask_b32_e64 v0, 0, 1, s0
	v_cmp_gt_i32_e64 s0, 1, v18
	v_and_or_b32 v0, 0xffe, v16, v0
	v_sub_nc_u32_e32 v16, 0x3f1, v17
	v_cndmask_b32_e64 v14, v15, v14, s0
	v_and_or_b32 v15, 0x8000, v5, v4
	v_mul_f64 v[4:5], v[11:12], s[4:5]
	v_or_b32_e32 v21, 0x1000, v0
	v_med3_i32 v11, v16, 0, 13
	v_and_b32_e32 v19, 7, v14
	v_lshl_or_b32 v13, v15, 16, v13
	v_lshrrev_b32_e32 v12, 2, v14
	v_lshrrev_b32_e32 v15, v11, v21
	v_cmp_lt_i32_e64 s0, 5, v19
	v_cmp_eq_u32_e64 s1, 3, v19
	v_lshlrev_b32_e32 v11, v11, v15
	s_or_b32 s0, s1, s0
	v_add_co_ci_u32_e64 v14, s0, 0, v12, s0
	v_cmp_ne_u32_e64 s0, v11, v21
	v_cvt_f64_f32_e32 v[11:12], v6
	v_add_nc_u32_e32 v6, 0xfffffc10, v17
	v_and_or_b32 v4, 0x1ff, v5, v4
	v_cndmask_b32_e64 v16, 0, 1, s0
	v_cmp_gt_i32_e64 s0, 31, v18
	v_lshrrev_b32_e32 v17, 8, v5
	v_bfe_u32 v19, v5, 20, 11
	v_or_b32_e32 v15, v15, v16
	v_cndmask_b32_e64 v14, 0x7c00, v14, s0
	v_cmp_ne_u32_e64 s0, 0, v4
	v_lshl_or_b32 v16, v6, 12, v0
	v_cndmask_b32_e64 v4, 0, 1, s0
	v_cmp_ne_u32_e64 s0, 0, v9
	v_and_or_b32 v4, 0xffe, v17, v4
	v_cndmask_b32_e64 v9, 0, 1, s0
	v_cmp_gt_i32_e64 s0, 1, v6
	v_lshrrev_b32_e32 v17, 16, v8
	v_mul_f64 v[11:12], v[11:12], s[4:5]
	v_or_b32_e32 v21, 0x1000, v4
	v_lshl_or_b32 v9, v9, 9, 0x7c00
	v_cndmask_b32_e64 v15, v16, v15, s0
	v_sub_nc_u32_e32 v16, 0x3f1, v19
	v_cmp_eq_u32_e64 s0, 0x40f, v18
	v_mul_f16_sdwa v22, v81, v17 dst_sel:DWORD dst_unused:UNUSED_PAD src0_sel:WORD_1 src1_sel:DWORD
	v_add_nc_u32_e32 v19, 0xfffffc10, v19
	v_and_b32_e32 v20, 7, v15
	v_med3_i32 v16, v16, 0, 13
	v_cndmask_b32_e64 v9, v14, v9, s0
	v_fmac_f16_e32 v22, v81, v8
	v_mul_f16_sdwa v8, v81, v8 dst_sel:DWORD dst_unused:UNUSED_PAD src0_sel:WORD_1 src1_sel:DWORD
	v_cmp_lt_i32_e64 s0, 5, v20
	v_lshrrev_b32_e32 v14, v16, v21
	v_cmp_eq_u32_e64 s1, 3, v20
	v_and_or_b32 v18, 0x8000, v10, v9
	v_lshrrev_b32_e32 v9, 2, v15
	v_cvt_f32_f16_e32 v15, v22
	v_lshlrev_b32_e32 v10, v16, v14
	s_or_b32 s0, s1, s0
	v_fma_f16 v8, v81, v17, -v8
	v_add_co_ci_u32_e64 v16, s0, 0, v9, s0
	v_cmp_ne_u32_e64 s0, v10, v21
	v_cvt_f64_f32_e32 v[9:10], v15
	v_lshl_or_b32 v15, v19, 12, v4
	v_and_or_b32 v11, 0x1ff, v12, v11
	v_cvt_f32_f16_e32 v8, v8
	v_cndmask_b32_e64 v20, 0, 1, s0
	v_cmp_ne_u32_e64 s0, 0, v0
	v_lshrrev_b32_e32 v17, 16, v7
	v_or_b32_e32 v14, v14, v20
	v_cndmask_b32_e64 v0, 0, 1, s0
	v_cmp_gt_i32_e64 s0, 31, v6
	v_bfe_u32 v20, v12, 20, 11
	v_mul_f16_sdwa v22, v80, v17 dst_sel:DWORD dst_unused:UNUSED_PAD src0_sel:WORD_1 src1_sel:DWORD
	v_lshl_or_b32 v0, v0, 9, 0x7c00
	v_cndmask_b32_e64 v16, 0x7c00, v16, s0
	v_cmp_gt_i32_e64 s0, 1, v19
	v_fmac_f16_e32 v22, v80, v7
	v_mul_f16_sdwa v7, v80, v7 dst_sel:DWORD dst_unused:UNUSED_PAD src0_sel:WORD_1 src1_sel:DWORD
	v_cndmask_b32_e64 v14, v15, v14, s0
	v_cmp_ne_u32_e64 s0, 0, v11
	v_lshrrev_b32_e32 v15, 8, v12
	v_fma_f16 v7, v80, v17, -v7
	v_lshrrev_b32_e32 v12, 16, v12
	v_and_b32_e32 v21, 7, v14
	v_cndmask_b32_e64 v11, 0, 1, s0
	v_cmp_eq_u32_e64 s0, 0x40f, v6
	v_cvt_f32_f16_e32 v7, v7
	v_cmp_eq_u32_e64 s1, 3, v21
	v_and_or_b32 v15, 0xffe, v15, v11
	v_sub_nc_u32_e32 v11, 0x3f1, v20
	v_cndmask_b32_e64 v6, v16, v0, s0
	v_cmp_lt_i32_e64 s0, 5, v21
	v_lshrrev_b32_e32 v16, 16, v1
	v_mul_f64 v[0:1], v[9:10], s[4:5]
	v_med3_i32 v10, v11, 0, 13
	v_lshrrev_b32_e32 v11, 2, v14
	v_or_b32_e32 v9, 0x1000, v15
	s_or_b32 s0, s1, s0
	v_and_or_b32 v6, 0x8000, v16, v6
	v_and_b32_e32 v14, 0xffff, v18
	v_add_co_ci_u32_e64 v11, s0, 0, v11, s0
	v_lshrrev_b32_e32 v16, v10, v9
	v_cmp_ne_u32_e64 s0, 0, v4
	v_lshl_or_b32 v14, v6, 16, v14
	v_add_nc_u32_e32 v18, 0xfffffc10, v20
	v_lshlrev_b32_e32 v6, v10, v16
	v_cndmask_b32_e64 v4, 0, 1, s0
	v_cmp_gt_i32_e64 s0, 31, v19
	v_lshl_or_b32 v4, v4, 9, 0x7c00
	v_cndmask_b32_e64 v10, 0x7c00, v11, s0
	v_cmp_ne_u32_e64 s0, v6, v9
	v_and_or_b32 v0, 0x1ff, v1, v0
	v_lshrrev_b32_e32 v11, 8, v1
	v_cvt_f64_f32_e32 v[8:9], v8
	v_cndmask_b32_e64 v6, 0, 1, s0
	v_cmp_eq_u32_e64 s0, 0x40f, v19
	v_cndmask_b32_e64 v10, v10, v4, s0
	v_cmp_ne_u32_e64 s0, 0, v0
	v_or_b32_e32 v4, v16, v6
	v_lshl_or_b32 v6, v18, 12, v15
	v_bfe_u32 v16, v1, 20, 11
	v_lshrrev_b32_e32 v1, 16, v1
	v_cndmask_b32_e64 v0, 0, 1, s0
	v_cmp_gt_i32_e64 s0, 1, v18
	v_and_or_b32 v0, 0xffe, v11, v0
	v_cndmask_b32_e64 v6, v6, v4, s0
	v_sub_nc_u32_e32 v4, 0x3f1, v16
	v_lshrrev_b32_e32 v11, 16, v5
	v_mul_f64 v[8:9], v[8:9], s[4:5]
	v_or_b32_e32 v20, 0x1000, v0
	v_and_b32_e32 v19, 7, v6
	v_med3_i32 v21, v4, 0, 13
	v_add_co_u32 v4, s0, v2, s10
	v_add_co_ci_u32_e64 v5, s0, s11, v3, s0
	v_lshrrev_b32_e32 v24, v21, v20
	v_cmp_lt_i32_e64 s0, 5, v19
	v_cmp_eq_u32_e64 s1, 3, v19
	v_lshrrev_b32_e32 v6, 2, v6
	v_and_or_b32 v23, 0x8000, v11, v10
	v_lshlrev_b32_e32 v19, v21, v24
	v_cvt_f32_f16_e32 v10, v22
	s_or_b32 s0, s1, s0
	v_add_nc_u32_e32 v16, 0xfffffc10, v16
	v_add_co_ci_u32_e64 v6, s0, 0, v6, s0
	v_cmp_ne_u32_e64 s0, v19, v20
	v_cvt_f64_f32_e32 v[10:11], v10
	v_lshl_or_b32 v20, v16, 12, v0
	v_and_or_b32 v8, 0x1ff, v9, v8
	v_cndmask_b32_e64 v19, 0, 1, s0
	v_cmp_ne_u32_e64 s0, 0, v15
	v_or_b32_e32 v19, v24, v19
	v_cndmask_b32_e64 v15, 0, 1, s0
	v_cmp_gt_i32_e64 s0, 31, v18
	v_lshl_or_b32 v15, v15, 9, 0x7c00
	v_cndmask_b32_e64 v6, 0x7c00, v6, s0
	v_cmp_gt_i32_e64 s0, 1, v16
	v_cndmask_b32_e64 v17, v20, v19, s0
	v_cmp_eq_u32_e64 s0, 0x40f, v18
	v_mul_f64 v[10:11], v[10:11], s[4:5]
	v_lshrrev_b32_e32 v19, 8, v9
	v_bfe_u32 v20, v9, 20, 11
	v_and_b32_e32 v18, 7, v17
	v_cndmask_b32_e64 v15, v6, v15, s0
	v_cvt_f64_f32_e32 v[6:7], v7
	v_cmp_ne_u32_e64 s0, 0, v8
	v_lshrrev_b32_e32 v9, 16, v9
	v_cmp_eq_u32_e64 s1, 3, v18
	v_and_or_b32 v12, 0x8000, v12, v15
	v_and_b32_e32 v15, 0xffff, v23
	v_cndmask_b32_e64 v8, 0, 1, s0
	v_cmp_lt_i32_e64 s0, 5, v18
	v_lshl_or_b32 v12, v12, 16, v15
	v_lshrrev_b32_e32 v15, 2, v17
	v_and_or_b32 v8, 0xffe, v19, v8
	v_sub_nc_u32_e32 v19, 0x3f1, v20
	s_or_b32 s0, s1, s0
	v_add_co_ci_u32_e64 v15, s0, 0, v15, s0
	v_or_b32_e32 v17, 0x1000, v8
	v_med3_i32 v18, v19, 0, 13
	v_cmp_ne_u32_e64 s0, 0, v0
	v_and_or_b32 v10, 0x1ff, v11, v10
	v_mul_f64 v[6:7], v[6:7], s[4:5]
	v_lshrrev_b32_e32 v21, 8, v11
	v_lshrrev_b32_e32 v19, v18, v17
	v_cndmask_b32_e64 v0, 0, 1, s0
	v_cmp_gt_i32_e64 s0, 31, v16
	v_bfe_u32 v22, v11, 20, 11
	v_lshrrev_b32_e32 v11, 16, v11
	v_lshlrev_b32_e32 v18, v18, v19
	v_lshl_or_b32 v0, v0, 9, 0x7c00
	v_cndmask_b32_e64 v15, 0x7c00, v15, s0
	v_cmp_ne_u32_e64 s0, 0, v10
	v_cndmask_b32_e64 v10, 0, 1, s0
	v_cmp_ne_u32_e64 s0, v18, v17
	v_add_nc_u32_e32 v18, 0xfffffc10, v20
	v_sub_nc_u32_e32 v20, 0x3f1, v22
	v_and_or_b32 v10, 0xffe, v21, v10
	v_cndmask_b32_e64 v17, 0, 1, s0
	v_cmp_eq_u32_e64 s0, 0x40f, v16
	v_lshl_or_b32 v16, v18, 12, v8
	v_and_or_b32 v6, 0x1ff, v7, v6
	v_bfe_u32 v21, v7, 20, 11
	v_cndmask_b32_e64 v0, v15, v0, s0
	v_or_b32_e32 v15, v19, v17
	v_or_b32_e32 v17, 0x1000, v10
	v_med3_i32 v19, v20, 0, 13
	v_cmp_gt_i32_e64 s0, 1, v18
	v_lshrrev_b32_e32 v20, 8, v7
	v_and_or_b32 v0, 0x8000, v1, v0
	v_cndmask_b32_e64 v15, v16, v15, s0
	v_lshrrev_b32_e32 v16, v19, v17
	v_cmp_ne_u32_e64 s0, 0, v6
	v_and_b32_e32 v0, 0xffff, v0
	v_and_b32_e32 v23, 7, v15
	v_lshlrev_b32_e32 v19, v19, v16
	v_cndmask_b32_e64 v6, 0, 1, s0
	v_lshrrev_b32_e32 v15, 2, v15
	v_cmp_lt_i32_e64 s0, 5, v23
	v_cmp_ne_u32_e64 s1, v19, v17
	v_and_or_b32 v1, 0xffe, v20, v6
	v_sub_nc_u32_e32 v6, 0x3f1, v21
	v_add_nc_u32_e32 v20, 0xfffffc10, v22
	v_cndmask_b32_e64 v17, 0, 1, s1
	v_cmp_eq_u32_e64 s1, 3, v23
	v_or_b32_e32 v19, 0x1000, v1
	v_med3_i32 v6, v6, 0, 13
	v_lshl_or_b32 v22, v20, 12, v10
	v_or_b32_e32 v16, v16, v17
	s_or_b32 s0, s1, s0
	v_add_co_ci_u32_e64 v15, s0, 0, v15, s0
	v_lshrrev_b32_e32 v17, v6, v19
	v_cmp_gt_i32_e64 s0, 1, v20
	v_lshlrev_b32_e32 v6, v6, v17
	v_cndmask_b32_e64 v16, v22, v16, s0
	v_cmp_ne_u32_e64 s0, 0, v8
	v_cndmask_b32_e64 v8, 0, 1, s0
	v_cmp_ne_u32_e64 s0, v6, v19
	v_add_nc_u32_e32 v19, 0xfffffc10, v21
	v_and_b32_e32 v21, 7, v16
	v_lshl_or_b32 v8, v8, 9, 0x7c00
	v_cndmask_b32_e64 v6, 0, 1, s0
	v_cmp_gt_i32_e64 s0, 31, v18
	v_cmp_gt_i32_e64 s2, 1, v19
	v_cmp_eq_u32_e64 s1, 3, v21
	v_or_b32_e32 v6, v17, v6
	v_lshl_or_b32 v17, v19, 12, v1
	v_cndmask_b32_e64 v15, 0x7c00, v15, s0
	v_cmp_lt_i32_e64 s0, 5, v21
	v_cndmask_b32_e64 v6, v17, v6, s2
	v_cmp_eq_u32_e64 s2, 0x40f, v18
	s_or_b32 s0, s1, s0
	v_cndmask_b32_e64 v8, v15, v8, s2
	v_lshrrev_b32_e32 v15, 2, v16
	v_and_b32_e32 v16, 7, v6
	v_lshrrev_b32_e32 v6, 2, v6
	v_cmp_gt_i32_e64 s2, 31, v20
	v_and_or_b32 v8, 0x8000, v9, v8
	v_add_co_ci_u32_e64 v15, s0, 0, v15, s0
	v_cmp_ne_u32_e64 s0, 0, v10
	v_cmp_eq_u32_e64 s1, 3, v16
	v_cndmask_b32_e64 v15, 0x7c00, v15, s2
	v_cndmask_b32_e64 v10, 0, 1, s0
	v_cmp_lt_i32_e64 s0, 5, v16
	v_lshl_or_b32 v10, v10, 9, 0x7c00
	s_or_b32 s0, s1, s0
	v_add_co_ci_u32_e64 v6, s0, 0, v6, s0
	v_cmp_ne_u32_e64 s0, 0, v1
	v_cndmask_b32_e64 v1, 0, 1, s0
	v_cmp_eq_u32_e64 s0, 0x40f, v20
	v_lshl_or_b32 v1, v1, 9, 0x7c00
	v_cndmask_b32_e64 v10, v15, v10, s0
	v_cmp_gt_i32_e64 s0, 31, v19
	v_and_or_b32 v9, 0x8000, v11, v10
	v_cndmask_b32_e64 v6, 0x7c00, v6, s0
	v_cmp_eq_u32_e64 s0, 0x40f, v19
	v_lshrrev_b32_e32 v10, 16, v7
	v_lshl_or_b32 v11, v8, 16, v0
	v_cndmask_b32_e64 v1, v6, v1, s0
	v_add_co_u32 v6, s0, v4, s6
	v_add_co_ci_u32_e64 v7, s0, s7, v5, s0
	v_and_or_b32 v0, 0x8000, v10, v1
	v_and_b32_e32 v1, 0xffff, v9
	v_add_co_u32 v8, s0, v6, s10
	v_add_co_ci_u32_e64 v9, s0, s11, v7, s0
	v_lshl_or_b32 v10, v0, 16, v1
	v_add_co_u32 v0, s0, v8, s6
	v_add_co_ci_u32_e64 v1, s0, s7, v9, s0
	global_store_dword v[2:3], v13, off
	global_store_dword v[4:5], v14, off
	;; [unrolled: 1-line block ×5, first 2 shown]
	s_and_b32 exec_lo, exec_lo, vcc_lo
	s_cbranch_execz .LBB0_39
; %bb.38:
	global_load_dword v2, v[42:43], off offset:640
	ds_read_b32 v3, v79 offset:2688
	ds_read_b32 v6, v79 offset:5488
	s_waitcnt lgkmcnt(1)
	v_lshrrev_b32_e32 v4, 16, v3
	s_waitcnt vmcnt(0)
	v_mul_f16_sdwa v5, v4, v2 dst_sel:DWORD dst_unused:UNUSED_PAD src0_sel:DWORD src1_sel:WORD_1
	v_mul_f16_sdwa v7, v3, v2 dst_sel:DWORD dst_unused:UNUSED_PAD src0_sel:DWORD src1_sel:WORD_1
	v_fmac_f16_e32 v5, v3, v2
	v_fma_f16 v2, v2, v4, -v7
	v_cvt_f32_f16_e32 v3, v5
	v_cvt_f32_f16_e32 v4, v2
	v_cvt_f64_f32_e32 v[2:3], v3
	v_cvt_f64_f32_e32 v[4:5], v4
	v_mul_f64 v[2:3], v[2:3], s[4:5]
	v_mul_f64 v[4:5], v[4:5], s[4:5]
	v_and_or_b32 v2, 0x1ff, v3, v2
	v_and_or_b32 v4, 0x1ff, v5, v4
	v_lshrrev_b32_e32 v7, 8, v3
	v_bfe_u32 v8, v3, 20, 11
	v_lshrrev_b32_e32 v9, 8, v5
	v_cmp_ne_u32_e32 vcc_lo, 0, v2
	v_bfe_u32 v10, v5, 20, 11
	v_lshrrev_b32_e32 v3, 16, v3
	v_sub_nc_u32_e32 v11, 0x3f1, v8
	v_add_nc_u32_e32 v8, 0xfffffc10, v8
	v_cndmask_b32_e64 v2, 0, 1, vcc_lo
	v_cmp_ne_u32_e32 vcc_lo, 0, v4
	v_lshrrev_b32_e32 v5, 16, v5
	v_and_or_b32 v2, 0xffe, v7, v2
	v_cndmask_b32_e64 v4, 0, 1, vcc_lo
	v_sub_nc_u32_e32 v7, 0x3f1, v10
	v_add_nc_u32_e32 v10, 0xfffffc10, v10
	v_and_or_b32 v4, 0xffe, v9, v4
	v_med3_i32 v9, v11, 0, 13
	v_or_b32_e32 v11, 0x1000, v2
	v_med3_i32 v7, v7, 0, 13
	v_or_b32_e32 v12, 0x1000, v4
	v_lshrrev_b32_e32 v13, v9, v11
	v_lshrrev_b32_e32 v14, v7, v12
	v_lshlrev_b32_e32 v9, v9, v13
	v_lshlrev_b32_e32 v7, v7, v14
	v_cmp_ne_u32_e32 vcc_lo, v9, v11
	v_lshl_or_b32 v11, v8, 12, v2
	v_cndmask_b32_e64 v9, 0, 1, vcc_lo
	v_cmp_ne_u32_e32 vcc_lo, v7, v12
	v_lshl_or_b32 v12, v10, 12, v4
	v_or_b32_e32 v9, v13, v9
	v_cndmask_b32_e64 v7, 0, 1, vcc_lo
	v_cmp_gt_i32_e32 vcc_lo, 1, v8
	v_or_b32_e32 v7, v14, v7
	v_cndmask_b32_e32 v9, v11, v9, vcc_lo
	v_cmp_gt_i32_e32 vcc_lo, 1, v10
	v_and_b32_e32 v11, 7, v9
	v_cndmask_b32_e32 v7, v12, v7, vcc_lo
	v_cmp_ne_u32_e32 vcc_lo, 0, v2
	v_lshrrev_b32_e32 v9, 2, v9
	v_cmp_eq_u32_e64 s0, 3, v11
	v_and_b32_e32 v12, 7, v7
	v_cndmask_b32_e64 v2, 0, 1, vcc_lo
	v_cmp_ne_u32_e32 vcc_lo, 0, v4
	v_lshrrev_b32_e32 v7, 2, v7
	v_cmp_lt_i32_e64 s1, 5, v12
	v_cmp_eq_u32_e64 s2, 3, v12
	v_cndmask_b32_e64 v4, 0, 1, vcc_lo
	v_cmp_lt_i32_e32 vcc_lo, 5, v11
	v_lshl_or_b32 v2, v2, 9, 0x7c00
	v_lshl_or_b32 v4, v4, 9, 0x7c00
	s_or_b32 vcc_lo, s0, vcc_lo
	v_add_co_ci_u32_e32 v9, vcc_lo, 0, v9, vcc_lo
	s_or_b32 vcc_lo, s2, s1
	v_add_co_ci_u32_e32 v7, vcc_lo, 0, v7, vcc_lo
	v_cmp_gt_i32_e32 vcc_lo, 31, v8
	v_cndmask_b32_e32 v9, 0x7c00, v9, vcc_lo
	v_cmp_gt_i32_e32 vcc_lo, 31, v10
	v_cndmask_b32_e32 v7, 0x7c00, v7, vcc_lo
	v_cmp_eq_u32_e32 vcc_lo, 0x40f, v8
	v_cndmask_b32_e32 v2, v9, v2, vcc_lo
	v_cmp_eq_u32_e32 vcc_lo, 0x40f, v10
	v_and_or_b32 v2, 0x8000, v3, v2
	v_cndmask_b32_e32 v4, v7, v4, vcc_lo
	v_add_co_u32 v0, vcc_lo, v0, s10
	v_add_co_ci_u32_e32 v1, vcc_lo, s11, v1, vcc_lo
	v_and_or_b32 v3, 0x8000, v5, v4
	v_and_b32_e32 v2, 0xffff, v2
	v_lshl_or_b32 v2, v3, 16, v2
	s_waitcnt lgkmcnt(0)
	v_lshrrev_b32_e32 v3, 16, v6
	global_store_dword v[0:1], v2, off
	global_load_dword v2, v[40:41], off offset:1392
	s_waitcnt vmcnt(0)
	v_mul_f16_sdwa v4, v3, v2 dst_sel:DWORD dst_unused:UNUSED_PAD src0_sel:DWORD src1_sel:WORD_1
	v_mul_f16_sdwa v5, v6, v2 dst_sel:DWORD dst_unused:UNUSED_PAD src0_sel:DWORD src1_sel:WORD_1
	v_fmac_f16_e32 v4, v6, v2
	v_fma_f16 v2, v2, v3, -v5
	v_cvt_f32_f16_e32 v3, v4
	v_cvt_f32_f16_e32 v4, v2
	v_cvt_f64_f32_e32 v[2:3], v3
	v_cvt_f64_f32_e32 v[4:5], v4
	v_mul_f64 v[2:3], v[2:3], s[4:5]
	v_mul_f64 v[4:5], v[4:5], s[4:5]
	v_and_or_b32 v2, 0x1ff, v3, v2
	v_and_or_b32 v4, 0x1ff, v5, v4
	v_lshrrev_b32_e32 v6, 8, v3
	v_bfe_u32 v7, v3, 20, 11
	v_lshrrev_b32_e32 v8, 8, v5
	v_cmp_ne_u32_e32 vcc_lo, 0, v2
	v_bfe_u32 v9, v5, 20, 11
	v_lshrrev_b32_e32 v3, 16, v3
	v_sub_nc_u32_e32 v10, 0x3f1, v7
	v_add_nc_u32_e32 v7, 0xfffffc10, v7
	v_cndmask_b32_e64 v2, 0, 1, vcc_lo
	v_cmp_ne_u32_e32 vcc_lo, 0, v4
	v_lshrrev_b32_e32 v5, 16, v5
	v_and_or_b32 v2, 0xffe, v6, v2
	v_cndmask_b32_e64 v4, 0, 1, vcc_lo
	v_sub_nc_u32_e32 v6, 0x3f1, v9
	v_add_nc_u32_e32 v9, 0xfffffc10, v9
	v_and_or_b32 v4, 0xffe, v8, v4
	v_med3_i32 v8, v10, 0, 13
	v_or_b32_e32 v10, 0x1000, v2
	v_med3_i32 v6, v6, 0, 13
	v_or_b32_e32 v11, 0x1000, v4
	v_lshrrev_b32_e32 v12, v8, v10
	v_lshrrev_b32_e32 v13, v6, v11
	v_lshlrev_b32_e32 v8, v8, v12
	v_lshlrev_b32_e32 v6, v6, v13
	v_cmp_ne_u32_e32 vcc_lo, v8, v10
	v_lshl_or_b32 v10, v7, 12, v2
	v_cndmask_b32_e64 v8, 0, 1, vcc_lo
	v_cmp_ne_u32_e32 vcc_lo, v6, v11
	v_lshl_or_b32 v11, v9, 12, v4
	v_or_b32_e32 v8, v12, v8
	v_cndmask_b32_e64 v6, 0, 1, vcc_lo
	v_cmp_gt_i32_e32 vcc_lo, 1, v7
	v_or_b32_e32 v6, v13, v6
	v_cndmask_b32_e32 v8, v10, v8, vcc_lo
	v_cmp_gt_i32_e32 vcc_lo, 1, v9
	v_and_b32_e32 v10, 7, v8
	v_cndmask_b32_e32 v6, v11, v6, vcc_lo
	v_cmp_ne_u32_e32 vcc_lo, 0, v2
	v_lshrrev_b32_e32 v8, 2, v8
	v_cmp_eq_u32_e64 s0, 3, v10
	v_and_b32_e32 v11, 7, v6
	v_cndmask_b32_e64 v2, 0, 1, vcc_lo
	v_cmp_ne_u32_e32 vcc_lo, 0, v4
	v_lshrrev_b32_e32 v6, 2, v6
	v_cmp_lt_i32_e64 s1, 5, v11
	v_cmp_eq_u32_e64 s2, 3, v11
	v_cndmask_b32_e64 v4, 0, 1, vcc_lo
	v_cmp_lt_i32_e32 vcc_lo, 5, v10
	v_lshl_or_b32 v2, v2, 9, 0x7c00
	v_lshl_or_b32 v4, v4, 9, 0x7c00
	s_or_b32 vcc_lo, s0, vcc_lo
	v_add_co_ci_u32_e32 v8, vcc_lo, 0, v8, vcc_lo
	s_or_b32 vcc_lo, s2, s1
	v_add_co_ci_u32_e32 v6, vcc_lo, 0, v6, vcc_lo
	v_cmp_gt_i32_e32 vcc_lo, 31, v7
	v_cndmask_b32_e32 v8, 0x7c00, v8, vcc_lo
	v_cmp_gt_i32_e32 vcc_lo, 31, v9
	v_cndmask_b32_e32 v6, 0x7c00, v6, vcc_lo
	v_cmp_eq_u32_e32 vcc_lo, 0x40f, v7
	v_cndmask_b32_e32 v2, v8, v2, vcc_lo
	v_cmp_eq_u32_e32 vcc_lo, 0x40f, v9
	v_and_or_b32 v2, 0x8000, v3, v2
	v_cndmask_b32_e32 v4, v6, v4, vcc_lo
	v_add_co_u32 v0, vcc_lo, v0, s6
	v_add_co_ci_u32_e32 v1, vcc_lo, s7, v1, vcc_lo
	v_and_or_b32 v3, 0x8000, v5, v4
	v_and_b32_e32 v2, 0xffff, v2
	v_lshl_or_b32 v2, v3, 16, v2
	global_store_dword v[0:1], v2, off
.LBB0_39:
	s_endpgm
	.section	.rodata,"a",@progbits
	.p2align	6, 0x0
	.amdhsa_kernel bluestein_single_fwd_len1400_dim1_half_op_CI_CI
		.amdhsa_group_segment_fixed_size 5600
		.amdhsa_private_segment_fixed_size 0
		.amdhsa_kernarg_size 104
		.amdhsa_user_sgpr_count 6
		.amdhsa_user_sgpr_private_segment_buffer 1
		.amdhsa_user_sgpr_dispatch_ptr 0
		.amdhsa_user_sgpr_queue_ptr 0
		.amdhsa_user_sgpr_kernarg_segment_ptr 1
		.amdhsa_user_sgpr_dispatch_id 0
		.amdhsa_user_sgpr_flat_scratch_init 0
		.amdhsa_user_sgpr_private_segment_size 0
		.amdhsa_wavefront_size32 1
		.amdhsa_uses_dynamic_stack 0
		.amdhsa_system_sgpr_private_segment_wavefront_offset 0
		.amdhsa_system_sgpr_workgroup_id_x 1
		.amdhsa_system_sgpr_workgroup_id_y 0
		.amdhsa_system_sgpr_workgroup_id_z 0
		.amdhsa_system_sgpr_workgroup_info 0
		.amdhsa_system_vgpr_workitem_id 0
		.amdhsa_next_free_vgpr 215
		.amdhsa_next_free_sgpr 18
		.amdhsa_reserve_vcc 1
		.amdhsa_reserve_flat_scratch 0
		.amdhsa_float_round_mode_32 0
		.amdhsa_float_round_mode_16_64 0
		.amdhsa_float_denorm_mode_32 3
		.amdhsa_float_denorm_mode_16_64 3
		.amdhsa_dx10_clamp 1
		.amdhsa_ieee_mode 1
		.amdhsa_fp16_overflow 0
		.amdhsa_workgroup_processor_mode 1
		.amdhsa_memory_ordered 1
		.amdhsa_forward_progress 0
		.amdhsa_shared_vgpr_count 0
		.amdhsa_exception_fp_ieee_invalid_op 0
		.amdhsa_exception_fp_denorm_src 0
		.amdhsa_exception_fp_ieee_div_zero 0
		.amdhsa_exception_fp_ieee_overflow 0
		.amdhsa_exception_fp_ieee_underflow 0
		.amdhsa_exception_fp_ieee_inexact 0
		.amdhsa_exception_int_div_zero 0
	.end_amdhsa_kernel
	.text
.Lfunc_end0:
	.size	bluestein_single_fwd_len1400_dim1_half_op_CI_CI, .Lfunc_end0-bluestein_single_fwd_len1400_dim1_half_op_CI_CI
                                        ; -- End function
	.section	.AMDGPU.csdata,"",@progbits
; Kernel info:
; codeLenInByte = 46164
; NumSgprs: 20
; NumVgprs: 215
; ScratchSize: 0
; MemoryBound: 0
; FloatMode: 240
; IeeeMode: 1
; LDSByteSize: 5600 bytes/workgroup (compile time only)
; SGPRBlocks: 2
; VGPRBlocks: 26
; NumSGPRsForWavesPerEU: 20
; NumVGPRsForWavesPerEU: 215
; Occupancy: 4
; WaveLimiterHint : 1
; COMPUTE_PGM_RSRC2:SCRATCH_EN: 0
; COMPUTE_PGM_RSRC2:USER_SGPR: 6
; COMPUTE_PGM_RSRC2:TRAP_HANDLER: 0
; COMPUTE_PGM_RSRC2:TGID_X_EN: 1
; COMPUTE_PGM_RSRC2:TGID_Y_EN: 0
; COMPUTE_PGM_RSRC2:TGID_Z_EN: 0
; COMPUTE_PGM_RSRC2:TIDIG_COMP_CNT: 0
	.text
	.p2alignl 6, 3214868480
	.fill 48, 4, 3214868480
	.type	__hip_cuid_1e6533eddf2e296c,@object ; @__hip_cuid_1e6533eddf2e296c
	.section	.bss,"aw",@nobits
	.globl	__hip_cuid_1e6533eddf2e296c
__hip_cuid_1e6533eddf2e296c:
	.byte	0                               ; 0x0
	.size	__hip_cuid_1e6533eddf2e296c, 1

	.ident	"AMD clang version 19.0.0git (https://github.com/RadeonOpenCompute/llvm-project roc-6.4.0 25133 c7fe45cf4b819c5991fe208aaa96edf142730f1d)"
	.section	".note.GNU-stack","",@progbits
	.addrsig
	.addrsig_sym __hip_cuid_1e6533eddf2e296c
	.amdgpu_metadata
---
amdhsa.kernels:
  - .args:
      - .actual_access:  read_only
        .address_space:  global
        .offset:         0
        .size:           8
        .value_kind:     global_buffer
      - .actual_access:  read_only
        .address_space:  global
        .offset:         8
        .size:           8
        .value_kind:     global_buffer
      - .actual_access:  read_only
        .address_space:  global
        .offset:         16
        .size:           8
        .value_kind:     global_buffer
      - .actual_access:  read_only
        .address_space:  global
        .offset:         24
        .size:           8
        .value_kind:     global_buffer
      - .actual_access:  read_only
        .address_space:  global
        .offset:         32
        .size:           8
        .value_kind:     global_buffer
      - .offset:         40
        .size:           8
        .value_kind:     by_value
      - .address_space:  global
        .offset:         48
        .size:           8
        .value_kind:     global_buffer
      - .address_space:  global
        .offset:         56
        .size:           8
        .value_kind:     global_buffer
      - .address_space:  global
        .offset:         64
        .size:           8
        .value_kind:     global_buffer
      - .address_space:  global
        .offset:         72
        .size:           8
        .value_kind:     global_buffer
      - .offset:         80
        .size:           4
        .value_kind:     by_value
      - .address_space:  global
        .offset:         88
        .size:           8
        .value_kind:     global_buffer
      - .address_space:  global
        .offset:         96
        .size:           8
        .value_kind:     global_buffer
    .group_segment_fixed_size: 5600
    .kernarg_segment_align: 8
    .kernarg_segment_size: 104
    .language:       OpenCL C
    .language_version:
      - 2
      - 0
    .max_flat_workgroup_size: 56
    .name:           bluestein_single_fwd_len1400_dim1_half_op_CI_CI
    .private_segment_fixed_size: 0
    .sgpr_count:     20
    .sgpr_spill_count: 0
    .symbol:         bluestein_single_fwd_len1400_dim1_half_op_CI_CI.kd
    .uniform_work_group_size: 1
    .uses_dynamic_stack: false
    .vgpr_count:     215
    .vgpr_spill_count: 0
    .wavefront_size: 32
    .workgroup_processor_mode: 1
amdhsa.target:   amdgcn-amd-amdhsa--gfx1030
amdhsa.version:
  - 1
  - 2
...

	.end_amdgpu_metadata
